;; amdgpu-corpus repo=ROCm/rocFFT kind=compiled arch=gfx1201 opt=O3
	.text
	.amdgcn_target "amdgcn-amd-amdhsa--gfx1201"
	.amdhsa_code_object_version 6
	.protected	bluestein_single_back_len220_dim1_dp_op_CI_CI ; -- Begin function bluestein_single_back_len220_dim1_dp_op_CI_CI
	.globl	bluestein_single_back_len220_dim1_dp_op_CI_CI
	.p2align	8
	.type	bluestein_single_back_len220_dim1_dp_op_CI_CI,@function
bluestein_single_back_len220_dim1_dp_op_CI_CI: ; @bluestein_single_back_len220_dim1_dp_op_CI_CI
; %bb.0:
	s_load_b128 s[16:19], s[0:1], 0x28
	v_mul_u32_u24_e32 v1, 0xba3, v0
	s_mov_b32 s2, exec_lo
	s_delay_alu instid0(VALU_DEP_1) | instskip(NEXT) | instid1(VALU_DEP_1)
	v_lshrrev_b32_e32 v1, 16, v1
	v_mad_co_u64_u32 v[144:145], null, ttmp9, 5, v[1:2]
	v_mov_b32_e32 v145, 0
	s_wait_kmcnt 0x0
	s_delay_alu instid0(VALU_DEP_1)
	v_cmpx_gt_u64_e64 s[16:17], v[144:145]
	s_cbranch_execz .LBB0_10
; %bb.1:
	s_clause 0x1
	s_load_b128 s[4:7], s[0:1], 0x18
	s_load_b128 s[8:11], s[0:1], 0x0
	v_mul_lo_u16 v1, v1, 22
	v_mul_hi_u32 v121, 0xcccccccd, v144
	s_mov_b32 s16, 0x4755a5e
	s_mov_b32 s17, 0x3fe2cf23
	;; [unrolled: 1-line block ×3, first 2 shown]
	v_sub_nc_u16 v40, v0, v1
	s_mov_b32 s21, 0x3fe9e377
	s_delay_alu instid0(VALU_DEP_2) | instskip(NEXT) | instid1(VALU_DEP_2)
	v_lshrrev_b32_e32 v121, 2, v121
	v_and_b32_e32 v244, 0xffff, v40
	s_wait_kmcnt 0x0
	s_load_b128 s[12:15], s[4:5], 0x0
	s_wait_kmcnt 0x0
	v_mad_co_u64_u32 v[0:1], null, s14, v144, 0
	v_mad_co_u64_u32 v[2:3], null, s12, v244, 0
	s_mul_u64 s[2:3], s[12:13], 0x160
	s_mov_b32 s14, s16
	s_delay_alu instid0(VALU_DEP_1) | instskip(SKIP_1) | instid1(VALU_DEP_1)
	v_mad_co_u64_u32 v[4:5], null, s15, v144, v[1:2]
	s_mov_b32 s15, 0xbfe2cf23
	v_mov_b32_e32 v1, v4
	s_delay_alu instid0(VALU_DEP_3) | instskip(SKIP_2) | instid1(VALU_DEP_2)
	v_mad_co_u64_u32 v[5:6], null, s13, v244, v[3:4]
	s_mov_b32 s12, 0x134454ff
	s_mov_b32 s13, 0x3fee6f0e
	v_lshlrev_b64_e32 v[0:1], 4, v[0:1]
	v_lshlrev_b32_e32 v214, 4, v244
	s_clause 0x1
	global_load_b128 v[245:248], v214, s[8:9]
	global_load_b128 v[249:252], v214, s[8:9] offset:352
	v_mov_b32_e32 v3, v5
	v_add_co_u32 v10, vcc_lo, s18, v0
	v_add_co_ci_u32_e32 v11, vcc_lo, s19, v1, vcc_lo
	s_delay_alu instid0(VALU_DEP_3)
	v_lshlrev_b64_e32 v[8:9], 4, v[2:3]
	s_clause 0x5
	global_load_b128 v[0:3], v214, s[8:9] offset:704
	global_load_b128 v[12:15], v214, s[8:9] offset:1056
	;; [unrolled: 1-line block ×6, first 2 shown]
	s_mov_b32 s18, 0x372fe950
	s_mov_b32 s19, 0x3fd3c6ef
	v_add_co_u32 v32, vcc_lo, v10, v8
	s_wait_alu 0xfffd
	v_add_co_ci_u32_e32 v33, vcc_lo, v11, v9, vcc_lo
	s_delay_alu instid0(VALU_DEP_2) | instskip(SKIP_1) | instid1(VALU_DEP_2)
	v_add_co_u32 v34, vcc_lo, v32, s2
	s_wait_alu 0xfffd
	v_add_co_ci_u32_e32 v35, vcc_lo, s3, v33, vcc_lo
	global_load_b128 v[41:44], v[32:33], off
	v_add_co_u32 v36, vcc_lo, v34, s2
	s_wait_alu 0xfffd
	v_add_co_ci_u32_e32 v37, vcc_lo, s3, v35, vcc_lo
	s_clause 0x1
	global_load_b128 v[45:48], v[34:35], off
	global_load_b128 v[49:52], v[36:37], off
	v_add_co_u32 v38, vcc_lo, v36, s2
	s_wait_alu 0xfffd
	v_add_co_ci_u32_e32 v39, vcc_lo, s3, v37, vcc_lo
	s_delay_alu instid0(VALU_DEP_2) | instskip(SKIP_1) | instid1(VALU_DEP_2)
	v_add_co_u32 v57, vcc_lo, v38, s2
	s_wait_alu 0xfffd
	v_add_co_ci_u32_e32 v58, vcc_lo, s3, v39, vcc_lo
	s_delay_alu instid0(VALU_DEP_2) | instskip(SKIP_1) | instid1(VALU_DEP_2)
	v_add_co_u32 v32, vcc_lo, v57, s2
	s_wait_alu 0xfffd
	v_add_co_ci_u32_e32 v33, vcc_lo, s3, v58, vcc_lo
	s_clause 0x1
	global_load_b128 v[53:56], v[38:39], off
	global_load_b128 v[57:60], v[57:58], off
	v_add_co_u32 v34, vcc_lo, v32, s2
	s_wait_alu 0xfffd
	v_add_co_ci_u32_e32 v35, vcc_lo, s3, v33, vcc_lo
	global_load_b128 v[61:64], v[32:33], off
	v_add_co_u32 v36, vcc_lo, v34, s2
	s_wait_alu 0xfffd
	v_add_co_ci_u32_e32 v37, vcc_lo, s3, v35, vcc_lo
	;; [unrolled: 4-line block ×3, first 2 shown]
	s_delay_alu instid0(VALU_DEP_2) | instskip(SKIP_1) | instid1(VALU_DEP_2)
	v_add_co_u32 v77, vcc_lo, v32, s2
	s_wait_alu 0xfffd
	v_add_co_ci_u32_e32 v78, vcc_lo, s3, v33, vcc_lo
	global_load_b128 v[69:72], v[36:37], off
	global_load_b128 v[73:76], v[32:33], off
	s_clause 0x1
	global_load_b128 v[32:35], v214, s[8:9] offset:2816
	global_load_b128 v[36:39], v214, s[8:9] offset:3168
	global_load_b128 v[77:80], v[77:78], off
	s_load_b128 s[4:7], s[6:7], 0x0
	s_mov_b32 s3, 0xbfee6f0e
	s_mov_b32 s2, s12
	v_cmp_gt_u16_e32 vcc_lo, 20, v40
	s_wait_loadcnt 0x11
	scratch_store_b128 off, v[0:3], off     ; 16-byte Folded Spill
	s_wait_loadcnt 0xb
	v_mul_f64_e32 v[81:82], v[43:44], v[247:248]
	v_mul_f64_e32 v[83:84], v[41:42], v[247:248]
	s_wait_loadcnt 0xa
	v_mul_f64_e32 v[85:86], v[47:48], v[251:252]
	v_mul_f64_e32 v[87:88], v[45:46], v[251:252]
	;; [unrolled: 3-line block ×10, first 2 shown]
	v_fma_f64 v[41:42], v[41:42], v[245:246], v[81:82]
	v_fma_f64 v[43:44], v[43:44], v[245:246], -v[83:84]
	v_fma_f64 v[45:46], v[45:46], v[249:250], v[85:86]
	v_fma_f64 v[47:48], v[47:48], v[249:250], -v[87:88]
	v_fma_f64 v[49:50], v[49:50], v[0:1], v[89:90]
	v_fma_f64 v[51:52], v[51:52], v[0:1], -v[91:92]
	v_lshl_add_u32 v81, v121, 2, v121
	s_delay_alu instid0(VALU_DEP_1)
	v_sub_nc_u32_e32 v81, v144, v81
	v_fma_f64 v[53:54], v[53:54], v[12:13], v[93:94]
	v_fma_f64 v[55:56], v[55:56], v[12:13], -v[95:96]
	v_fma_f64 v[57:58], v[57:58], v[16:17], v[97:98]
	v_fma_f64 v[59:60], v[59:60], v[16:17], -v[99:100]
	v_mul_u32_u24_e32 v81, 0xdc, v81
	v_fma_f64 v[61:62], v[61:62], v[20:21], v[101:102]
	v_fma_f64 v[63:64], v[63:64], v[20:21], -v[103:104]
	s_delay_alu instid0(VALU_DEP_3) | instskip(SKIP_2) | instid1(VALU_DEP_3)
	v_lshlrev_b32_e32 v213, 4, v81
	v_fma_f64 v[65:66], v[65:66], v[24:25], v[105:106]
	v_fma_f64 v[67:68], v[67:68], v[24:25], -v[107:108]
	v_add_nc_u32_e32 v212, v214, v213
	v_fma_f64 v[69:70], v[69:70], v[28:29], v[109:110]
	v_fma_f64 v[71:72], v[71:72], v[28:29], -v[111:112]
	v_fma_f64 v[73:74], v[73:74], v[32:33], v[113:114]
	v_fma_f64 v[75:76], v[75:76], v[32:33], -v[115:116]
	;; [unrolled: 2-line block ×3, first 2 shown]
	ds_store_b128 v212, v[41:44]
	ds_store_b128 v212, v[45:48] offset:352
	ds_store_b128 v212, v[49:52] offset:704
	;; [unrolled: 1-line block ×9, first 2 shown]
	global_wb scope:SCOPE_SE
	s_wait_storecnt_dscnt 0x0
	s_wait_kmcnt 0x0
	s_barrier_signal -1
	s_barrier_wait -1
	global_inv scope:SCOPE_SE
	ds_load_b128 v[41:44], v212 offset:1056
	ds_load_b128 v[45:48], v212 offset:1760
	;; [unrolled: 1-line block ×5, first 2 shown]
	s_wait_dscnt 0x3
	v_add_f64_e64 v[105:106], v[41:42], -v[45:46]
	s_wait_dscnt 0x2
	v_add_f64_e32 v[61:62], v[45:46], v[49:50]
	s_wait_dscnt 0x1
	v_add_f64_e32 v[63:64], v[43:44], v[55:56]
	v_add_f64_e32 v[65:66], v[41:42], v[53:54]
	;; [unrolled: 1-line block ×3, first 2 shown]
	v_add_f64_e64 v[81:82], v[43:44], -v[55:56]
	v_add_f64_e64 v[85:86], v[45:46], -v[49:50]
	;; [unrolled: 1-line block ×11, first 2 shown]
	s_wait_dscnt 0x0
	v_add_f64_e32 v[41:42], v[57:58], v[41:42]
	v_add_f64_e32 v[43:44], v[59:60], v[43:44]
	v_fma_f64 v[87:88], v[61:62], -0.5, v[57:58]
	v_fma_f64 v[89:90], v[63:64], -0.5, v[59:60]
	;; [unrolled: 1-line block ×4, first 2 shown]
	ds_load_b128 v[61:64], v212 offset:704
	ds_load_b128 v[65:68], v212 offset:1408
	;; [unrolled: 1-line block ×4, first 2 shown]
	ds_load_b128 v[77:80], v212
	global_wb scope:SCOPE_SE
	s_wait_dscnt 0x0
	s_barrier_signal -1
	s_barrier_wait -1
	global_inv scope:SCOPE_SE
	v_add_f64_e32 v[41:42], v[41:42], v[45:46]
	v_add_f64_e32 v[43:44], v[43:44], v[47:48]
	;; [unrolled: 1-line block ×8, first 2 shown]
	v_add_f64_e64 v[131:132], v[63:64], -v[75:76]
	v_add_f64_e64 v[133:134], v[67:68], -v[71:72]
	;; [unrolled: 1-line block ×4, first 2 shown]
	v_fma_f64 v[119:120], v[81:82], s[12:13], v[87:88]
	v_fma_f64 v[121:122], v[85:86], s[12:13], v[89:90]
	v_fma_f64 v[123:124], v[83:84], s[12:13], v[91:92]
	s_wait_alu 0xfffe
	v_fma_f64 v[91:92], v[83:84], s[2:3], v[91:92]
	v_fma_f64 v[89:90], v[85:86], s[2:3], v[89:90]
	;; [unrolled: 1-line block ×5, first 2 shown]
	v_add_f64_e32 v[41:42], v[41:42], v[49:50]
	v_add_f64_e32 v[43:44], v[43:44], v[51:52]
	v_fma_f64 v[57:58], v[97:98], -0.5, v[77:78]
	v_fma_f64 v[77:78], v[99:100], -0.5, v[77:78]
	;; [unrolled: 1-line block ×4, first 2 shown]
	v_add_f64_e32 v[99:100], v[105:106], v[107:108]
	v_add_f64_e32 v[103:104], v[113:114], v[115:116]
	;; [unrolled: 1-line block ×3, first 2 shown]
	v_add_f64_e64 v[115:116], v[63:64], -v[67:68]
	v_add_f64_e64 v[63:64], v[67:68], -v[63:64]
	v_add_f64_e32 v[67:68], v[135:136], v[67:68]
	v_add_f64_e64 v[111:112], v[73:74], -v[69:70]
	v_add_f64_e64 v[113:114], v[69:70], -v[73:74]
	v_fma_f64 v[105:106], v[83:84], s[16:17], v[119:120]
	v_fma_f64 v[107:108], v[93:94], s[14:15], v[121:122]
	;; [unrolled: 1-line block ×6, first 2 shown]
	v_add_f64_e32 v[87:88], v[117:118], v[125:126]
	v_fma_f64 v[91:92], v[85:86], s[16:17], v[127:128]
	v_add_f64_e64 v[93:94], v[61:62], -v[65:66]
	v_add_f64_e64 v[61:62], v[65:66], -v[61:62]
	v_add_f64_e32 v[65:66], v[129:130], v[65:66]
	v_add_f64_e64 v[117:118], v[75:76], -v[71:72]
	v_add_f64_e64 v[119:120], v[71:72], -v[75:76]
	v_fma_f64 v[85:86], v[85:86], s[14:15], v[95:96]
	v_add_f64_e32 v[53:54], v[41:42], v[53:54]
	v_add_f64_e32 v[55:56], v[43:44], v[55:56]
	v_mul_lo_u16 v41, v40, 10
	v_and_b32_e32 v42, 0xff, v40
	v_fma_f64 v[45:46], v[131:132], s[12:13], v[57:58]
	v_fma_f64 v[47:48], v[131:132], s[2:3], v[57:58]
	;; [unrolled: 1-line block ×8, first 2 shown]
	v_add_f64_e32 v[67:68], v[67:68], v[71:72]
	v_fma_f64 v[95:96], v[99:100], s[18:19], v[105:106]
	v_fma_f64 v[105:106], v[103:104], s[18:19], v[107:108]
	;; [unrolled: 1-line block ×7, first 2 shown]
	v_add_f64_e32 v[93:94], v[93:94], v[111:112]
	v_add_f64_e32 v[61:62], v[61:62], v[113:114]
	;; [unrolled: 1-line block ×5, first 2 shown]
	v_fma_f64 v[45:46], v[133:134], s[16:17], v[45:46]
	v_fma_f64 v[47:48], v[133:134], s[14:15], v[47:48]
	;; [unrolled: 1-line block ×9, first 2 shown]
	v_add_f64_e32 v[67:68], v[67:68], v[75:76]
	v_mul_f64_e32 v[79:80], s[20:21], v[95:96]
	v_mul_f64_e32 v[85:86], s[12:13], v[105:106]
	;; [unrolled: 1-line block ×8, first 2 shown]
	v_add_f64_e32 v[65:66], v[65:66], v[73:74]
	v_fma_f64 v[73:74], v[93:94], s[18:19], v[45:46]
	v_fma_f64 v[75:76], v[93:94], s[18:19], v[47:48]
	;; [unrolled: 1-line block ×8, first 2 shown]
	v_add_f64_e64 v[47:48], v[67:68], -v[55:56]
	v_fma_f64 v[69:70], v[77:78], s[16:17], v[79:80]
	v_fma_f64 v[71:72], v[81:82], s[18:19], v[85:86]
	;; [unrolled: 1-line block ×3, first 2 shown]
	v_fma_f64 v[79:80], v[89:90], s[12:13], -v[87:88]
	v_fma_f64 v[87:88], v[105:106], s[18:19], v[101:102]
	v_fma_f64 v[89:90], v[107:108], s[2:3], -v[103:104]
	v_fma_f64 v[81:82], v[91:92], s[16:17], -v[97:98]
	;; [unrolled: 1-line block ×3, first 2 shown]
	v_add_nc_u16 v91, v40, 22
	v_add_nc_u16 v92, v40, 44
	;; [unrolled: 1-line block ×3, first 2 shown]
	v_and_b32_e32 v97, 0xffff, v41
	v_mul_lo_u16 v41, 0xcd, v42
	v_and_b32_e32 v42, 0xff, v91
	v_and_b32_e32 v43, 0xff, v92
	v_and_b32_e32 v44, 0xff, v95
	v_add_f64_e64 v[45:46], v[65:66], -v[53:54]
	v_lshrrev_b16 v140, 11, v41
	v_mul_lo_u16 v101, 0xcd, v42
	v_mul_lo_u16 v102, 0xcd, v43
	;; [unrolled: 1-line block ×3, first 2 shown]
	v_add_f64_e32 v[41:42], v[65:66], v[53:54]
	v_add_f64_e32 v[43:44], v[67:68], v[55:56]
	v_add_nc_u16 v96, v40, 0x58
	v_lshrrev_b16 v141, 11, v101
	v_lshrrev_b16 v142, 11, v102
	;; [unrolled: 1-line block ×3, first 2 shown]
	v_lshl_add_u32 v216, v97, 4, v213
	v_and_b32_e32 v98, 0xff, v96
	s_load_b64 s[2:3], s[0:1], 0x38
	v_add_co_u32 v145, s0, s8, v214
	s_wait_alu 0xf1ff
	v_add_co_ci_u32_e64 v146, null, s9, 0, s0
	v_add_f64_e32 v[49:50], v[73:74], v[69:70]
	v_add_f64_e32 v[53:54], v[93:94], v[71:72]
	;; [unrolled: 1-line block ×8, first 2 shown]
	v_add_f64_e64 v[65:66], v[73:74], -v[69:70]
	v_add_f64_e64 v[67:68], v[113:114], -v[85:86]
	;; [unrolled: 1-line block ×8, first 2 shown]
	v_mul_lo_u16 v81, 0xcd, v98
	v_mul_lo_u16 v82, v140, 10
	;; [unrolled: 1-line block ×3, first 2 shown]
	ds_store_b128 v216, v[41:44]
	ds_store_b128 v216, v[49:52] offset:16
	ds_store_b128 v216, v[53:56] offset:32
	;; [unrolled: 1-line block ×9, first 2 shown]
	v_lshrrev_b16 v147, 11, v81
	v_sub_nc_u16 v148, v40, v82
	v_mul_lo_u16 v81, v141, 10
	v_mul_lo_u16 v82, v142, 10
	v_sub_nc_u16 v83, v95, v83
	v_mul_lo_u16 v84, v147, 10
	global_wb scope:SCOPE_SE
	s_wait_dscnt 0x0
	v_sub_nc_u16 v149, v91, v81
	v_sub_nc_u16 v81, v92, v82
	v_and_b32_e32 v82, 0xff, v148
	v_sub_nc_u16 v84, v96, v84
	v_and_b32_e32 v151, 0xff, v83
	v_and_b32_e32 v85, 0xff, v149
	;; [unrolled: 1-line block ×3, first 2 shown]
	v_lshlrev_b32_e32 v81, 4, v82
	v_and_b32_e32 v152, 0xff, v84
	v_lshlrev_b32_e32 v41, 4, v151
	v_lshlrev_b32_e32 v82, 4, v85
	;; [unrolled: 1-line block ×3, first 2 shown]
	s_wait_kmcnt 0x0
	s_barrier_signal -1
	v_lshlrev_b32_e32 v42, 4, v152
	s_barrier_wait -1
	global_inv scope:SCOPE_SE
	s_clause 0x4
	global_load_b128 v[72:75], v81, s[10:11]
	global_load_b128 v[76:79], v82, s[10:11]
	;; [unrolled: 1-line block ×5, first 2 shown]
	ds_load_b128 v[41:44], v212 offset:1760
	ds_load_b128 v[45:48], v212 offset:2112
	;; [unrolled: 1-line block ×6, first 2 shown]
	v_and_b32_e32 v40, 0xffff, v142
	s_delay_alu instid0(VALU_DEP_1) | instskip(NEXT) | instid1(VALU_DEP_1)
	v_mul_u32_u24_e32 v40, 20, v40
	v_add_nc_u32_e32 v40, v40, v150
	s_delay_alu instid0(VALU_DEP_1)
	v_lshl_add_u32 v217, v40, 4, v213
	s_wait_loadcnt_dscnt 0x405
	v_mul_f64_e32 v[57:58], v[43:44], v[74:75]
	v_mul_f64_e32 v[84:85], v[41:42], v[74:75]
	s_wait_loadcnt_dscnt 0x304
	v_mul_f64_e32 v[86:87], v[47:48], v[78:79]
	v_mul_f64_e32 v[92:93], v[45:46], v[78:79]
	;; [unrolled: 3-line block ×5, first 2 shown]
	v_fma_f64 v[57:58], v[41:42], v[72:73], -v[57:58]
	v_fma_f64 v[84:85], v[43:44], v[72:73], v[84:85]
	v_fma_f64 v[86:87], v[45:46], v[76:77], -v[86:87]
	v_fma_f64 v[92:93], v[47:48], v[76:77], v[92:93]
	;; [unrolled: 2-line block ×5, first 2 shown]
	ds_load_b128 v[41:44], v212
	ds_load_b128 v[45:48], v212 offset:352
	ds_load_b128 v[49:52], v212 offset:704
	;; [unrolled: 1-line block ×3, first 2 shown]
	global_wb scope:SCOPE_SE
	s_wait_dscnt 0x0
	s_barrier_signal -1
	s_barrier_wait -1
	global_inv scope:SCOPE_SE
	v_add_f64_e64 v[108:109], v[41:42], -v[57:58]
	v_add_f64_e64 v[110:111], v[43:44], -v[84:85]
	v_add_f64_e64 v[112:113], v[45:46], -v[86:87]
	v_add_f64_e64 v[114:115], v[47:48], -v[92:93]
	v_add_f64_e64 v[84:85], v[49:50], -v[94:95]
	v_add_f64_e64 v[86:87], v[51:52], -v[96:97]
	v_add_f64_e64 v[124:125], v[53:54], -v[98:99]
	v_add_f64_e64 v[126:127], v[55:56], -v[100:101]
	v_add_f64_e64 v[136:137], v[88:89], -v[64:65]
	v_add_f64_e64 v[138:139], v[90:91], -v[66:67]
	v_fma_f64 v[104:105], v[41:42], 2.0, -v[108:109]
	v_fma_f64 v[106:107], v[43:44], 2.0, -v[110:111]
	;; [unrolled: 1-line block ×10, first 2 shown]
	v_and_b32_e32 v41, 0xffff, v143
	v_and_b32_e32 v42, 0xffff, v147
	v_mad_u16 v43, v140, 20, v148
	v_mad_u16 v44, v141, 20, v149
                                        ; implicit-def: $vgpr140_vgpr141
	s_delay_alu instid0(VALU_DEP_4) | instskip(NEXT) | instid1(VALU_DEP_4)
	v_mul_u32_u24_e32 v41, 20, v41
	v_mul_u32_u24_e32 v42, 20, v42
	s_delay_alu instid0(VALU_DEP_4) | instskip(NEXT) | instid1(VALU_DEP_4)
	v_and_b32_e32 v43, 0xff, v43
	v_and_b32_e32 v44, 0xff, v44
	s_delay_alu instid0(VALU_DEP_4) | instskip(NEXT) | instid1(VALU_DEP_4)
	v_add_nc_u32_e32 v41, v41, v151
	v_add_nc_u32_e32 v42, v42, v152
	s_delay_alu instid0(VALU_DEP_4) | instskip(NEXT) | instid1(VALU_DEP_4)
	v_lshl_add_u32 v219, v43, 4, v213
	v_lshl_add_u32 v218, v44, 4, v213
	s_delay_alu instid0(VALU_DEP_4) | instskip(NEXT) | instid1(VALU_DEP_4)
	v_lshl_add_u32 v255, v41, 4, v213
	v_lshl_add_u32 v211, v42, 4, v213
	ds_store_b128 v219, v[104:107]
	ds_store_b128 v219, v[108:111] offset:160
	ds_store_b128 v218, v[128:131]
	ds_store_b128 v218, v[112:115] offset:160
	;; [unrolled: 2-line block ×5, first 2 shown]
	global_wb scope:SCOPE_SE
	s_wait_dscnt 0x0
	s_barrier_signal -1
	s_barrier_wait -1
	global_inv scope:SCOPE_SE
	s_and_saveexec_b32 s0, vcc_lo
	s_cbranch_execz .LBB0_3
; %bb.2:
	ds_load_b128 v[104:107], v212
	ds_load_b128 v[108:111], v212 offset:320
	ds_load_b128 v[128:131], v212 offset:640
	;; [unrolled: 1-line block ×10, first 2 shown]
.LBB0_3:
	s_wait_alu 0xfffe
	s_or_b32 exec_lo, exec_lo, s0
	v_subrev_nc_u32_e32 v40, 20, v244
	s_mov_b32 s12, 0x8eee2c13
	s_mov_b32 s13, 0xbfed1bb4
	;; [unrolled: 1-line block ×4, first 2 shown]
	v_cndmask_b32_e32 v40, v40, v244, vcc_lo
	s_mov_b32 s15, 0x3fda9628
	s_mov_b32 s17, 0xbfefac9e
	;; [unrolled: 1-line block ×4, first 2 shown]
	v_mul_i32_i24_e32 v41, 0xa0, v40
	v_mul_hi_i32_i24_e32 v40, 0xa0, v40
	s_mov_b32 s19, 0xbfc2375f
	s_mov_b32 s25, 0xbfe82f19
	;; [unrolled: 1-line block ×3, first 2 shown]
	v_add_co_u32 v96, s0, s10, v41
	s_wait_alu 0xf1ff
	v_add_co_ci_u32_e64 v97, s0, s11, v40, s0
	s_mov_b32 s0, 0xf8bb580b
	s_mov_b32 s1, 0xbfe14ced
	;; [unrolled: 1-line block ×3, first 2 shown]
	s_clause 0x9
	global_load_b128 v[64:67], v[96:97], off offset:160
	global_load_b128 v[40:43], v[96:97], off offset:304
	;; [unrolled: 1-line block ×10, first 2 shown]
	s_mov_b32 s11, 0x3feaeb8c
	s_mov_b32 s26, 0xfd768dbf
	;; [unrolled: 1-line block ×6, first 2 shown]
	s_wait_loadcnt_dscnt 0x909
	v_mul_f64_e32 v[147:148], v[110:111], v[66:67]
	v_mul_f64_e32 v[149:150], v[108:109], v[66:67]
	s_wait_loadcnt_dscnt 0x800
	v_mul_f64_e32 v[151:152], v[140:141], v[42:43]
	v_mul_f64_e32 v[153:154], v[142:143], v[42:43]
	s_wait_loadcnt 0x7
	v_mul_f64_e32 v[155:156], v[130:131], v[90:91]
	v_mul_f64_e32 v[157:158], v[128:129], v[90:91]
	s_wait_loadcnt 0x6
	v_mul_f64_e32 v[159:160], v[138:139], v[46:47]
	v_mul_f64_e32 v[161:162], v[136:137], v[46:47]
	s_wait_loadcnt 0x1
	v_mul_f64_e32 v[165:166], v[86:87], v[102:103]
	v_mul_f64_e32 v[167:168], v[84:85], v[102:103]
	s_wait_loadcnt 0x0
	v_mul_f64_e32 v[169:170], v[118:119], v[98:99]
	v_mul_f64_e32 v[171:172], v[116:117], v[98:99]
	v_fma_f64 v[195:196], v[108:109], v[64:65], -v[147:148]
	v_fma_f64 v[197:198], v[110:111], v[64:65], v[149:150]
	v_fma_f64 v[110:111], v[142:143], v[40:41], v[151:152]
	v_fma_f64 v[108:109], v[140:141], v[40:41], -v[153:154]
	v_mul_f64_e32 v[147:148], v[114:115], v[50:51]
	v_mul_f64_e32 v[149:150], v[112:113], v[50:51]
	;; [unrolled: 1-line block ×4, first 2 shown]
	v_fma_f64 v[140:141], v[128:129], v[88:89], -v[155:156]
	v_fma_f64 v[142:143], v[130:131], v[88:89], v[157:158]
	v_fma_f64 v[130:131], v[138:139], v[44:45], v[161:162]
	v_fma_f64 v[128:129], v[136:137], v[44:45], -v[159:160]
	v_mul_f64_e32 v[155:156], v[122:123], v[94:95]
	v_mul_f64_e32 v[157:158], v[120:121], v[94:95]
	;; [unrolled: 1-line block ×4, first 2 shown]
	v_fma_f64 v[116:117], v[116:117], v[96:97], -v[169:170]
	v_fma_f64 v[118:119], v[118:119], v[96:97], v[171:172]
	v_add_f64_e64 v[199:200], v[197:198], -v[110:111]
	v_add_f64_e64 v[203:204], v[195:196], -v[108:109]
	v_fma_f64 v[136:137], v[112:113], v[48:49], -v[147:148]
	v_fma_f64 v[138:139], v[114:115], v[48:49], v[149:150]
	v_fma_f64 v[112:113], v[132:133], v[52:53], -v[151:152]
	v_fma_f64 v[114:115], v[134:135], v[52:53], v[153:154]
	v_add_f64_e32 v[201:202], v[195:196], v[108:109]
	v_add_f64_e32 v[205:206], v[197:198], v[110:111]
	v_add_f64_e64 v[163:164], v[142:143], -v[130:131]
	v_add_f64_e64 v[151:152], v[140:141], -v[128:129]
	v_fma_f64 v[132:133], v[120:121], v[92:93], -v[155:156]
	v_fma_f64 v[134:135], v[122:123], v[92:93], v[157:158]
	v_fma_f64 v[120:121], v[124:125], v[56:57], -v[159:160]
	v_fma_f64 v[122:123], v[126:127], v[56:57], v[161:162]
	v_add_f64_e32 v[147:148], v[140:141], v[128:129]
	v_add_f64_e32 v[149:150], v[142:143], v[130:131]
	v_fma_f64 v[124:125], v[84:85], v[100:101], -v[165:166]
	v_fma_f64 v[126:127], v[86:87], v[100:101], v[167:168]
	s_wait_alu 0xf1fe
	v_mul_f64_e32 v[207:208], s[0:1], v[199:200]
	v_mul_f64_e32 v[209:210], s[0:1], v[203:204]
	v_add_f64_e64 v[161:162], v[136:137], -v[112:113]
	v_add_f64_e64 v[175:176], v[138:139], -v[114:115]
	v_add_f64_e32 v[157:158], v[136:137], v[112:113]
	v_add_f64_e32 v[159:160], v[138:139], v[114:115]
	v_mul_f64_e32 v[153:154], s[12:13], v[163:164]
	v_mul_f64_e32 v[155:156], s[12:13], v[151:152]
	v_add_f64_e64 v[173:174], v[132:133], -v[120:121]
	v_add_f64_e64 v[189:190], v[134:135], -v[122:123]
	v_add_f64_e32 v[169:170], v[132:133], v[120:121]
	v_add_f64_e32 v[171:172], v[134:135], v[122:123]
	v_add_f64_e64 v[191:192], v[124:125], -v[116:117]
	v_add_f64_e64 v[193:194], v[126:127], -v[118:119]
	v_fma_f64 v[177:178], v[201:202], s[10:11], v[207:208]
	v_fma_f64 v[179:180], v[205:206], s[10:11], -v[209:210]
	v_mul_f64_e32 v[187:188], s[16:17], v[161:162]
	v_mul_f64_e32 v[185:186], s[16:17], v[175:176]
	v_fma_f64 v[84:85], v[147:148], s[14:15], v[153:154]
	v_fma_f64 v[86:87], v[149:150], s[14:15], -v[155:156]
	v_mul_f64_e32 v[2:3], s[24:25], v[173:174]
	v_mul_f64_e32 v[4:5], s[26:27], v[191:192]
	;; [unrolled: 1-line block ×3, first 2 shown]
	v_add_f64_e32 v[181:182], v[104:105], v[177:178]
	v_add_f64_e32 v[183:184], v[106:107], v[179:180]
	v_mul_f64_e32 v[177:178], s[24:25], v[189:190]
	v_fma_f64 v[223:224], v[159:160], s[18:19], -v[187:188]
	v_fma_f64 v[221:222], v[157:158], s[18:19], v[185:186]
	v_fma_f64 v[227:228], v[171:172], s[20:21], -v[2:3]
	v_add_f64_e32 v[84:85], v[84:85], v[181:182]
	v_add_f64_e32 v[86:87], v[86:87], v[183:184]
	;; [unrolled: 1-line block ×4, first 2 shown]
	v_fma_f64 v[225:226], v[169:170], s[20:21], v[177:178]
	v_add_f64_e32 v[84:85], v[221:222], v[84:85]
	v_add_f64_e32 v[86:87], v[223:224], v[86:87]
	v_fma_f64 v[221:222], v[181:182], s[22:23], v[10:11]
	v_fma_f64 v[223:224], v[183:184], s[22:23], -v[4:5]
	s_delay_alu instid0(VALU_DEP_4) | instskip(NEXT) | instid1(VALU_DEP_4)
	v_add_f64_e32 v[84:85], v[225:226], v[84:85]
	v_add_f64_e32 v[86:87], v[227:228], v[86:87]
	s_delay_alu instid0(VALU_DEP_2) | instskip(NEXT) | instid1(VALU_DEP_2)
	v_add_f64_e32 v[84:85], v[221:222], v[84:85]
	v_add_f64_e32 v[86:87], v[223:224], v[86:87]
	s_and_saveexec_b32 s33, vcc_lo
	s_cbranch_execz .LBB0_5
; %bb.4:
	v_mul_f64_e32 v[221:222], s[22:23], v[205:206]
	v_mul_f64_e32 v[225:226], s[20:21], v[205:206]
	;; [unrolled: 1-line block ×5, first 2 shown]
	s_mov_b32 s37, 0x3fefac9e
	s_mov_b32 s36, s16
	;; [unrolled: 1-line block ×8, first 2 shown]
	v_mul_f64_e32 v[237:238], s[16:17], v[199:200]
	v_mov_b32_e32 v215, v211
	s_clause 0x1
	scratch_store_b64 off, v[2:3], off offset:40
	scratch_store_b64 off, v[4:5], off offset:32
	v_mov_b32_e32 v2, v245
	v_add_f64_e32 v[6:7], v[106:107], v[197:198]
	v_dual_mov_b32 v211, v244 :: v_dual_mov_b32 v4, v247
	v_mov_b32_e32 v3, v246
	v_mov_b32_e32 v5, v248
	s_mov_b32 s39, 0x3fe14ced
	s_mov_b32 s38, s0
	v_mov_b32_e32 v165, v213
	v_dual_mov_b32 v213, v217 :: v_dual_mov_b32 v180, v156
	v_mul_f64_e32 v[247:248], s[10:11], v[183:184]
	v_mov_b32_e32 v166, v218
	v_mul_f64_e32 v[217:218], s[18:19], v[183:184]
	v_mov_b32_e32 v167, v219
	v_mul_f64_e32 v[219:220], s[16:17], v[193:194]
	v_dual_mov_b32 v0, v177 :: v_dual_mov_b32 v1, v178
	v_mov_b32_e32 v178, v154
	v_fma_f64 v[223:224], v[203:204], s[34:35], v[221:222]
	v_fma_f64 v[221:222], v[203:204], s[26:27], v[221:222]
	;; [unrolled: 1-line block ×8, first 2 shown]
	v_add_f64_e32 v[205:206], v[209:210], v[205:206]
	v_mul_f64_e32 v[209:210], s[26:27], v[199:200]
	v_mul_f64_e32 v[233:234], s[24:25], v[199:200]
	;; [unrolled: 1-line block ×3, first 2 shown]
	v_fma_f64 v[243:244], v[201:202], s[18:19], -v[237:238]
	v_fma_f64 v[237:238], v[201:202], s[18:19], v[237:238]
	scratch_store_b64 off, v[6:7], off offset:16 ; 8-byte Folded Spill
	v_add_f64_e32 v[6:7], v[104:105], v[195:196]
	v_add_f64_e32 v[195:196], v[106:107], v[223:224]
	;; [unrolled: 1-line block ×5, first 2 shown]
	v_fma_f64 v[239:240], v[201:202], s[22:23], v[209:210]
	v_fma_f64 v[209:210], v[201:202], s[22:23], -v[209:210]
	v_fma_f64 v[241:242], v[201:202], s[20:21], v[233:234]
	v_fma_f64 v[233:234], v[201:202], s[20:21], -v[233:234]
	v_fma_f64 v[245:246], v[201:202], s[14:15], -v[199:200]
	v_fma_f64 v[199:200], v[201:202], s[14:15], v[199:200]
	v_mul_f64_e32 v[201:202], s[10:11], v[201:202]
	v_add_f64_e32 v[237:238], v[104:105], v[237:238]
	scratch_store_b64 off, v[6:7], off offset:24 ; 8-byte Folded Spill
	v_dual_mov_b32 v6, v249 :: v_dual_mov_b32 v7, v250
	v_dual_mov_b32 v8, v251 :: v_dual_mov_b32 v9, v252
	v_mov_b32_e32 v177, v153
	v_mul_f64_e32 v[153:154], s[36:37], v[189:190]
	v_mul_f64_e32 v[249:250], s[38:39], v[193:194]
	v_mov_b32_e32 v179, v155
	v_mul_f64_e32 v[155:156], s[20:21], v[183:184]
	v_add_f64_e32 v[197:198], v[104:105], v[239:240]
	v_add_f64_e32 v[239:240], v[104:105], v[243:244]
	;; [unrolled: 1-line block ×6, first 2 shown]
	v_add_f64_e64 v[201:202], v[201:202], -v[207:208]
	v_mul_f64_e32 v[199:200], s[10:11], v[149:150]
	v_add_f64_e32 v[207:208], v[106:107], v[221:222]
	v_add_f64_e32 v[221:222], v[106:107], v[227:228]
	;; [unrolled: 1-line block ×7, first 2 shown]
	v_fma_f64 v[104:105], v[151:152], s[0:1], v[199:200]
	v_fma_f64 v[199:200], v[151:152], s[38:39], v[199:200]
	s_delay_alu instid0(VALU_DEP_2) | instskip(SKIP_1) | instid1(VALU_DEP_3)
	v_add_f64_e32 v[104:105], v[104:105], v[195:196]
	v_mul_f64_e32 v[195:196], s[38:39], v[163:164]
	v_add_f64_e32 v[199:200], v[199:200], v[207:208]
	v_mul_f64_e32 v[207:208], s[10:11], v[159:160]
	s_delay_alu instid0(VALU_DEP_3) | instskip(SKIP_1) | instid1(VALU_DEP_2)
	v_fma_f64 v[106:107], v[147:148], s[10:11], v[195:196]
	v_fma_f64 v[195:196], v[147:148], s[10:11], -v[195:196]
	v_add_f64_e32 v[106:107], v[106:107], v[197:198]
	v_mul_f64_e32 v[197:198], s[20:21], v[159:160]
	s_delay_alu instid0(VALU_DEP_3) | instskip(SKIP_2) | instid1(VALU_DEP_4)
	v_add_f64_e32 v[195:196], v[195:196], v[209:210]
	v_fma_f64 v[209:210], v[161:162], s[38:39], v[207:208]
	v_fma_f64 v[207:208], v[161:162], s[0:1], v[207:208]
	;; [unrolled: 1-line block ×4, first 2 shown]
	s_delay_alu instid0(VALU_DEP_2) | instskip(SKIP_1) | instid1(VALU_DEP_3)
	v_add_f64_e32 v[104:105], v[201:202], v[104:105]
	v_mul_f64_e32 v[201:202], s[24:25], v[175:176]
	v_add_f64_e32 v[197:198], v[197:198], v[199:200]
	s_delay_alu instid0(VALU_DEP_2) | instskip(SKIP_2) | instid1(VALU_DEP_3)
	v_fma_f64 v[203:204], v[157:158], s[20:21], v[201:202]
	v_fma_f64 v[199:200], v[157:158], s[20:21], -v[201:202]
	v_fma_f64 v[201:202], v[181:182], s[18:19], -v[219:220]
	v_add_f64_e32 v[106:107], v[203:204], v[106:107]
	v_mul_f64_e32 v[203:204], s[14:15], v[171:172]
	s_delay_alu instid0(VALU_DEP_4) | instskip(NEXT) | instid1(VALU_DEP_2)
	v_add_f64_e32 v[195:196], v[199:200], v[195:196]
	v_fma_f64 v[205:206], v[173:174], s[12:13], v[203:204]
	v_fma_f64 v[199:200], v[173:174], s[30:31], v[203:204]
	v_mul_f64_e32 v[203:204], s[18:19], v[149:150]
	s_delay_alu instid0(VALU_DEP_3) | instskip(SKIP_1) | instid1(VALU_DEP_4)
	v_add_f64_e32 v[104:105], v[205:206], v[104:105]
	v_mul_f64_e32 v[205:206], s[30:31], v[189:190]
	v_add_f64_e32 v[197:198], v[199:200], v[197:198]
	s_delay_alu instid0(VALU_DEP_2) | instskip(SKIP_2) | instid1(VALU_DEP_3)
	v_fma_f64 v[199:200], v[169:170], s[14:15], -v[205:206]
	v_fma_f64 v[253:254], v[169:170], s[14:15], v[205:206]
	v_mul_f64_e32 v[205:206], s[36:37], v[163:164]
	v_add_f64_e32 v[195:196], v[199:200], v[195:196]
	v_fma_f64 v[199:200], v[191:192], s[16:17], v[217:218]
	s_delay_alu instid0(VALU_DEP_4) | instskip(SKIP_1) | instid1(VALU_DEP_4)
	v_add_f64_e32 v[253:254], v[253:254], v[106:107]
	v_fma_f64 v[106:107], v[191:192], s[36:37], v[217:218]
	v_add_f64_e32 v[195:196], v[201:202], v[195:196]
	s_delay_alu instid0(VALU_DEP_4)
	v_add_f64_e32 v[197:198], v[199:200], v[197:198]
	v_fma_f64 v[199:200], v[151:152], s[16:17], v[203:204]
	v_fma_f64 v[201:202], v[147:148], s[18:19], v[205:206]
	;; [unrolled: 1-line block ×3, first 2 shown]
	v_fma_f64 v[205:206], v[147:148], s[18:19], -v[205:206]
	v_add_f64_e32 v[106:107], v[106:107], v[104:105]
	v_fma_f64 v[104:105], v[181:182], s[18:19], v[219:220]
	v_add_f64_e32 v[199:200], v[199:200], v[221:222]
	v_add_f64_e32 v[201:202], v[201:202], v[223:224]
	;; [unrolled: 1-line block ×4, first 2 shown]
	v_mul_f64_e32 v[223:224], s[14:15], v[183:184]
	v_add_f64_e32 v[104:105], v[104:105], v[253:254]
	v_mul_f64_e32 v[253:254], s[30:31], v[193:194]
	v_mul_f64_e32 v[225:226], s[22:23], v[149:150]
	;; [unrolled: 1-line block ×4, first 2 shown]
	v_add_f64_e32 v[199:200], v[209:210], v[199:200]
	v_mul_f64_e32 v[209:210], s[0:1], v[175:176]
	v_add_f64_e32 v[203:204], v[207:208], v[203:204]
	s_delay_alu instid0(VALU_DEP_2) | instskip(SKIP_2) | instid1(VALU_DEP_3)
	v_fma_f64 v[217:218], v[157:158], s[10:11], v[209:210]
	v_fma_f64 v[207:208], v[157:158], s[10:11], -v[209:210]
	v_fma_f64 v[209:210], v[181:182], s[14:15], -v[253:254]
	v_add_f64_e32 v[201:202], v[217:218], v[201:202]
	v_mul_f64_e32 v[217:218], s[22:23], v[171:172]
	s_delay_alu instid0(VALU_DEP_4) | instskip(NEXT) | instid1(VALU_DEP_2)
	v_add_f64_e32 v[205:206], v[207:208], v[205:206]
	v_fma_f64 v[219:220], v[173:174], s[34:35], v[217:218]
	v_fma_f64 v[207:208], v[173:174], s[26:27], v[217:218]
	v_mul_f64_e32 v[217:218], s[20:21], v[149:150]
	v_mul_f64_e32 v[149:150], s[14:15], v[149:150]
	s_delay_alu instid0(VALU_DEP_4) | instskip(SKIP_4) | instid1(VALU_DEP_4)
	v_add_f64_e32 v[199:200], v[219:220], v[199:200]
	v_mul_f64_e32 v[219:220], s[26:27], v[189:190]
	v_add_f64_e32 v[203:204], v[207:208], v[203:204]
	v_mul_f64_e32 v[189:190], s[0:1], v[189:190]
	v_add_f64_e32 v[149:150], v[179:180], v[149:150]
	v_fma_f64 v[207:208], v[169:170], s[22:23], -v[219:220]
	v_fma_f64 v[221:222], v[169:170], s[22:23], v[219:220]
	v_mul_f64_e32 v[219:220], s[24:25], v[163:164]
	v_mul_f64_e32 v[163:164], s[34:35], v[163:164]
	v_add_f64_e32 v[149:150], v[149:150], v[245:246]
	v_add_f64_e32 v[207:208], v[207:208], v[205:206]
	v_fma_f64 v[205:206], v[191:192], s[30:31], v[223:224]
	v_add_f64_e32 v[221:222], v[221:222], v[201:202]
	v_fma_f64 v[201:202], v[191:192], s[12:13], v[223:224]
	v_fma_f64 v[223:224], v[147:148], s[22:23], -v[163:164]
	v_fma_f64 v[163:164], v[147:148], s[22:23], v[163:164]
	v_add_f64_e32 v[205:206], v[205:206], v[203:204]
	v_add_f64_e32 v[203:204], v[209:210], v[207:208]
	v_fma_f64 v[207:208], v[151:152], s[24:25], v[217:218]
	v_add_f64_e32 v[201:202], v[201:202], v[199:200]
	v_fma_f64 v[199:200], v[181:182], s[14:15], v[253:254]
	v_fma_f64 v[209:210], v[147:148], s[20:21], -v[219:220]
	v_mul_f64_e32 v[253:254], s[18:19], v[171:172]
	v_add_f64_e32 v[223:224], v[223:224], v[239:240]
	v_add_f64_e32 v[163:164], v[163:164], v[237:238]
	;; [unrolled: 1-line block ×3, first 2 shown]
	v_mul_f64_e32 v[233:234], s[22:23], v[159:160]
	v_add_f64_e32 v[199:200], v[199:200], v[221:222]
	v_add_f64_e32 v[209:210], v[209:210], v[235:236]
	v_mul_f64_e32 v[235:236], s[34:35], v[175:176]
	v_mul_f64_e32 v[175:176], s[30:31], v[175:176]
	v_fma_f64 v[221:222], v[161:162], s[34:35], v[233:234]
	s_delay_alu instid0(VALU_DEP_1) | instskip(NEXT) | instid1(VALU_DEP_4)
	v_add_f64_e32 v[207:208], v[221:222], v[207:208]
	v_fma_f64 v[221:222], v[157:158], s[22:23], -v[235:236]
	s_delay_alu instid0(VALU_DEP_1) | instskip(SKIP_1) | instid1(VALU_DEP_1)
	v_add_f64_e32 v[209:210], v[221:222], v[209:210]
	v_fma_f64 v[221:222], v[173:174], s[36:37], v[253:254]
	v_add_f64_e32 v[207:208], v[221:222], v[207:208]
	v_fma_f64 v[221:222], v[169:170], s[18:19], -v[153:154]
	v_fma_f64 v[153:154], v[169:170], s[18:19], v[153:154]
	s_delay_alu instid0(VALU_DEP_2) | instskip(SKIP_1) | instid1(VALU_DEP_1)
	v_add_f64_e32 v[221:222], v[221:222], v[209:210]
	v_fma_f64 v[209:210], v[191:192], s[38:39], v[247:248]
	v_add_f64_e32 v[209:210], v[209:210], v[207:208]
	v_fma_f64 v[207:208], v[181:182], s[10:11], -v[249:250]
	s_delay_alu instid0(VALU_DEP_1)
	v_add_f64_e32 v[207:208], v[207:208], v[221:222]
	v_fma_f64 v[221:222], v[151:152], s[34:35], v[225:226]
	v_fma_f64 v[225:226], v[151:152], s[26:27], v[225:226]
	;; [unrolled: 1-line block ×3, first 2 shown]
	v_mov_b32_e32 v217, v213
	v_dual_mov_b32 v213, v165 :: v_dual_mov_b32 v218, v166
	v_add_f64_e32 v[221:222], v[221:222], v[231:232]
	v_fma_f64 v[231:232], v[161:162], s[30:31], v[227:228]
	v_add_f64_e32 v[225:226], v[225:226], v[229:230]
	v_fma_f64 v[227:228], v[161:162], s[12:13], v[227:228]
	v_add_f64_e32 v[151:152], v[151:152], v[241:242]
	s_delay_alu instid0(VALU_DEP_4) | instskip(SKIP_3) | instid1(VALU_DEP_3)
	v_add_f64_e32 v[221:222], v[231:232], v[221:222]
	v_fma_f64 v[231:232], v[157:158], s[14:15], -v[175:176]
	v_fma_f64 v[175:176], v[157:158], s[14:15], v[175:176]
	v_add_f64_e32 v[225:226], v[227:228], v[225:226]
	v_add_f64_e32 v[223:224], v[231:232], v[223:224]
	v_mul_f64_e32 v[231:232], s[10:11], v[171:172]
	s_delay_alu instid0(VALU_DEP_4) | instskip(NEXT) | instid1(VALU_DEP_2)
	v_add_f64_e32 v[163:164], v[175:176], v[163:164]
	v_fma_f64 v[239:240], v[173:174], s[0:1], v[231:232]
	v_fma_f64 v[175:176], v[173:174], s[38:39], v[231:232]
	s_delay_alu instid0(VALU_DEP_2) | instskip(SKIP_1) | instid1(VALU_DEP_3)
	v_add_f64_e32 v[221:222], v[239:240], v[221:222]
	v_fma_f64 v[239:240], v[169:170], s[10:11], -v[189:190]
	v_add_f64_e32 v[175:176], v[175:176], v[225:226]
	v_fma_f64 v[189:190], v[169:170], s[10:11], v[189:190]
	s_delay_alu instid0(VALU_DEP_3) | instskip(SKIP_2) | instid1(VALU_DEP_4)
	v_add_f64_e32 v[239:240], v[239:240], v[223:224]
	v_fma_f64 v[223:224], v[191:192], s[24:25], v[155:156]
	v_fma_f64 v[155:156], v[191:192], s[28:29], v[155:156]
	v_add_f64_e32 v[163:164], v[189:190], v[163:164]
	v_fma_f64 v[189:190], v[181:182], s[20:21], v[193:194]
	s_delay_alu instid0(VALU_DEP_4) | instskip(NEXT) | instid1(VALU_DEP_4)
	v_add_f64_e32 v[223:224], v[223:224], v[221:222]
	v_add_f64_e32 v[227:228], v[155:156], v[175:176]
	v_fma_f64 v[155:156], v[161:162], s[26:27], v[233:234]
	v_fma_f64 v[161:162], v[173:174], s[16:17], v[253:254]
	v_fma_f64 v[173:174], v[147:148], s[20:21], v[219:220]
	v_add_f64_e32 v[225:226], v[189:190], v[163:164]
	v_fma_f64 v[163:164], v[191:192], s[0:1], v[247:248]
	v_dual_mov_b32 v248, v5 :: v_dual_mov_b32 v247, v4
	v_dual_mov_b32 v246, v3 :: v_dual_mov_b32 v245, v2
	scratch_load_b64 v[2:3], off, off offset:40 th:TH_LOAD_LU ; 8-byte Folded Reload
	v_mul_f64_e32 v[147:148], s[14:15], v[147:148]
	v_fma_f64 v[221:222], v[181:182], s[20:21], -v[193:194]
	v_mov_b32_e32 v219, v167
	v_add_f64_e32 v[151:152], v[155:156], v[151:152]
	v_fma_f64 v[155:156], v[157:158], s[22:23], v[235:236]
	v_add_f64_e32 v[173:174], v[173:174], v[243:244]
	v_dual_mov_b32 v244, v211 :: v_dual_mov_b32 v211, v215
	v_add_f64_e64 v[147:148], v[147:148], -v[177:178]
	v_add_f64_e32 v[221:222], v[221:222], v[239:240]
	v_add_f64_e32 v[151:152], v[161:162], v[151:152]
	;; [unrolled: 1-line block ×3, first 2 shown]
	s_delay_alu instid0(VALU_DEP_4) | instskip(NEXT) | instid1(VALU_DEP_3)
	v_add_f64_e32 v[147:148], v[147:148], v[251:252]
	v_add_f64_e32 v[163:164], v[163:164], v[151:152]
	v_mul_f64_e32 v[151:152], s[18:19], v[159:160]
	s_delay_alu instid0(VALU_DEP_4) | instskip(SKIP_4) | instid1(VALU_DEP_4)
	v_add_f64_e32 v[153:154], v[153:154], v[155:156]
	v_fma_f64 v[155:156], v[181:182], s[10:11], v[249:250]
	v_dual_mov_b32 v252, v9 :: v_dual_mov_b32 v251, v8
	v_dual_mov_b32 v250, v7 :: v_dual_mov_b32 v249, v6
	v_add_f64_e32 v[151:152], v[187:188], v[151:152]
	v_add_f64_e32 v[161:162], v[155:156], v[153:154]
	v_mul_f64_e32 v[153:154], s[18:19], v[157:158]
	v_mul_f64_e32 v[157:158], s[20:21], v[169:170]
	;; [unrolled: 1-line block ×3, first 2 shown]
	v_add_f64_e32 v[149:150], v[151:152], v[149:150]
	v_mul_f64_e32 v[151:152], s[22:23], v[183:184]
	v_add_f64_e64 v[153:154], v[153:154], -v[185:186]
	v_add_f64_e64 v[157:158], v[157:158], -v[0:1]
	scratch_load_b64 v[0:1], off, off offset:32 th:TH_LOAD_LU ; 8-byte Folded Reload
	v_add_f64_e32 v[147:148], v[153:154], v[147:148]
	v_mul_f64_e32 v[153:154], s[22:23], v[181:182]
	s_delay_alu instid0(VALU_DEP_2) | instskip(NEXT) | instid1(VALU_DEP_2)
	v_add_f64_e32 v[147:148], v[157:158], v[147:148]
	v_add_f64_e64 v[153:154], v[153:154], -v[10:11]
	s_delay_alu instid0(VALU_DEP_1) | instskip(SKIP_4) | instid1(VALU_DEP_1)
	v_add_f64_e32 v[147:148], v[153:154], v[147:148]
	s_wait_loadcnt 0x0
	v_add_f64_e32 v[151:152], v[0:1], v[151:152]
	scratch_load_b64 v[0:1], off, off offset:16 th:TH_LOAD_LU ; 8-byte Folded Reload
	v_add_f64_e32 v[155:156], v[2:3], v[155:156]
	v_add_f64_e32 v[149:150], v[155:156], v[149:150]
	s_delay_alu instid0(VALU_DEP_1) | instskip(SKIP_4) | instid1(VALU_DEP_1)
	v_add_f64_e32 v[149:150], v[151:152], v[149:150]
	s_wait_loadcnt 0x0
	v_add_f64_e32 v[142:143], v[0:1], v[142:143]
	scratch_load_b64 v[0:1], off, off offset:24 th:TH_LOAD_LU ; 8-byte Folded Reload
	v_add_f64_e32 v[138:139], v[142:143], v[138:139]
	v_add_f64_e32 v[134:135], v[138:139], v[134:135]
	s_delay_alu instid0(VALU_DEP_1) | instskip(NEXT) | instid1(VALU_DEP_1)
	v_add_f64_e32 v[126:127], v[134:135], v[126:127]
	v_add_f64_e32 v[118:119], v[126:127], v[118:119]
	s_delay_alu instid0(VALU_DEP_1) | instskip(NEXT) | instid1(VALU_DEP_1)
	;; [unrolled: 3-line block ×3, first 2 shown]
	v_add_f64_e32 v[114:115], v[114:115], v[130:131]
	v_add_f64_e32 v[110:111], v[114:115], v[110:111]
	s_wait_loadcnt 0x0
	v_add_f64_e32 v[140:141], v[0:1], v[140:141]
	s_delay_alu instid0(VALU_DEP_1) | instskip(NEXT) | instid1(VALU_DEP_1)
	v_add_f64_e32 v[136:137], v[140:141], v[136:137]
	v_add_f64_e32 v[132:133], v[136:137], v[132:133]
	s_delay_alu instid0(VALU_DEP_1) | instskip(NEXT) | instid1(VALU_DEP_1)
	v_add_f64_e32 v[124:125], v[132:133], v[124:125]
	;; [unrolled: 3-line block ×4, first 2 shown]
	v_add_f64_e32 v[108:109], v[112:113], v[108:109]
	v_lshl_add_u32 v112, v244, 4, v213
	ds_store_b128 v112, v[207:210] offset:640
	ds_store_b128 v112, v[221:224] offset:960
	;; [unrolled: 1-line block ×9, first 2 shown]
	ds_store_b128 v212, v[108:111]
	ds_store_b128 v112, v[84:87] offset:3200
.LBB0_5:
	s_or_b32 exec_lo, exec_lo, s33
	s_add_nc_u64 s[0:1], s[8:9], 0xdc0
	global_wb scope:SCOPE_SE
	s_wait_storecnt_dscnt 0x0
	s_barrier_signal -1
	s_barrier_wait -1
	global_inv scope:SCOPE_SE
	s_clause 0x9
	global_load_b128 v[104:107], v[145:146], off offset:3520
	global_load_b128 v[108:111], v214, s[0:1] offset:352
	global_load_b128 v[112:115], v214, s[0:1] offset:704
	;; [unrolled: 1-line block ×9, first 2 shown]
	ds_load_b128 v[145:148], v212
	ds_load_b128 v[149:152], v212 offset:352
	ds_load_b128 v[153:156], v212 offset:704
	;; [unrolled: 1-line block ×9, first 2 shown]
	s_mov_b32 s10, 0x134454ff
	s_mov_b32 s11, 0xbfee6f0e
	s_mov_b32 s1, 0x3fee6f0e
	s_wait_alu 0xfffe
	s_mov_b32 s0, s10
	s_mov_b32 s14, 0x4755a5e
	;; [unrolled: 1-line block ×4, first 2 shown]
	s_wait_alu 0xfffe
	s_mov_b32 s8, s14
	s_mov_b32 s12, 0x372fe950
	s_mov_b32 s13, 0x3fd3c6ef
	s_mov_b32 s16, 0x9b97f4a8
	s_mov_b32 s19, 0xbfd3c6ef
	s_wait_alu 0xfffe
	s_mov_b32 s18, s12
	s_mov_b32 s17, 0x3fe9e377
	;; [unrolled: 1-line block ×4, first 2 shown]
	s_wait_loadcnt_dscnt 0x909
	v_mul_f64_e32 v[185:186], v[147:148], v[106:107]
	v_mul_f64_e32 v[106:107], v[145:146], v[106:107]
	s_wait_loadcnt_dscnt 0x808
	v_mul_f64_e32 v[187:188], v[151:152], v[110:111]
	v_mul_f64_e32 v[110:111], v[149:150], v[110:111]
	;; [unrolled: 3-line block ×10, first 2 shown]
	v_fma_f64 v[145:146], v[145:146], v[104:105], -v[185:186]
	v_fma_f64 v[147:148], v[147:148], v[104:105], v[106:107]
	v_fma_f64 v[104:105], v[149:150], v[108:109], -v[187:188]
	v_fma_f64 v[106:107], v[151:152], v[108:109], v[110:111]
	;; [unrolled: 2-line block ×10, first 2 shown]
	ds_store_b128 v212, v[145:148]
	ds_store_b128 v212, v[104:107] offset:352
	ds_store_b128 v212, v[108:111] offset:704
	;; [unrolled: 1-line block ×9, first 2 shown]
	global_wb scope:SCOPE_SE
	s_wait_dscnt 0x0
	s_barrier_signal -1
	s_barrier_wait -1
	global_inv scope:SCOPE_SE
	ds_load_b128 v[104:107], v212 offset:1056
	ds_load_b128 v[108:111], v212 offset:1760
	;; [unrolled: 1-line block ×6, first 2 shown]
	s_wait_dscnt 0x4
	v_add_f64_e64 v[167:168], v[104:105], -v[108:109]
	s_wait_dscnt 0x3
	v_add_f64_e32 v[128:129], v[110:111], v[114:115]
	v_add_f64_e32 v[132:133], v[108:109], v[112:113]
	s_wait_dscnt 0x2
	v_add_f64_e32 v[130:131], v[106:107], v[118:119]
	v_add_f64_e32 v[145:146], v[104:105], v[116:117]
	v_add_f64_e64 v[147:148], v[104:105], -v[116:117]
	v_add_f64_e64 v[155:156], v[106:107], -v[118:119]
	;; [unrolled: 1-line block ×9, first 2 shown]
	s_wait_dscnt 0x1
	v_add_f64_e32 v[106:107], v[122:123], v[106:107]
	v_add_f64_e64 v[197:198], v[112:113], -v[116:117]
	v_fma_f64 v[151:152], v[128:129], -0.5, v[122:123]
	v_fma_f64 v[157:158], v[132:133], -0.5, v[120:121]
	;; [unrolled: 1-line block ×3, first 2 shown]
	ds_load_b128 v[128:131], v212 offset:1408
	ds_load_b128 v[132:135], v212 offset:2112
	;; [unrolled: 1-line block ×3, first 2 shown]
	ds_load_b128 v[140:143], v212
	v_fma_f64 v[145:146], v[145:146], -0.5, v[120:121]
	v_add_f64_e32 v[120:121], v[120:121], v[104:105]
	v_add_f64_e64 v[104:105], v[108:109], -v[104:105]
	global_wb scope:SCOPE_SE
	s_wait_dscnt 0x0
	s_barrier_signal -1
	s_barrier_wait -1
	global_inv scope:SCOPE_SE
	v_add_f64_e32 v[106:107], v[106:107], v[110:111]
	v_add_f64_e32 v[159:160], v[128:129], v[132:133]
	;; [unrolled: 1-line block ×7, first 2 shown]
	v_add_f64_e64 v[189:190], v[126:127], -v[138:139]
	v_add_f64_e64 v[191:192], v[130:131], -v[134:135]
	;; [unrolled: 1-line block ×3, first 2 shown]
	v_fma_f64 v[181:182], v[147:148], s[0:1], v[151:152]
	v_fma_f64 v[151:152], v[147:148], s[10:11], v[151:152]
	;; [unrolled: 1-line block ×6, first 2 shown]
	v_add_f64_e32 v[108:109], v[120:121], v[108:109]
	v_add_f64_e32 v[104:105], v[104:105], v[197:198]
	;; [unrolled: 1-line block ×3, first 2 shown]
	v_fma_f64 v[122:123], v[159:160], -0.5, v[140:141]
	v_add_f64_e64 v[159:160], v[128:129], -v[132:133]
	v_fma_f64 v[140:141], v[161:162], -0.5, v[140:141]
	v_fma_f64 v[161:162], v[163:164], -0.5, v[142:143]
	;; [unrolled: 1-line block ×3, first 2 shown]
	v_add_f64_e32 v[163:164], v[167:168], v[169:170]
	v_add_f64_e32 v[165:166], v[171:172], v[173:174]
	v_fma_f64 v[169:170], v[179:180], s[0:1], v[145:146]
	v_fma_f64 v[145:146], v[179:180], s[10:11], v[145:146]
	v_add_f64_e32 v[167:168], v[175:176], v[177:178]
	v_add_f64_e64 v[175:176], v[136:137], -v[132:133]
	v_add_f64_e64 v[177:178], v[132:133], -v[136:137]
	v_fma_f64 v[171:172], v[149:150], s[8:9], v[181:182]
	v_fma_f64 v[149:150], v[149:150], s[14:15], v[151:152]
	;; [unrolled: 1-line block ×5, first 2 shown]
	v_add_f64_e64 v[153:154], v[124:125], -v[128:129]
	v_add_f64_e64 v[124:125], v[128:129], -v[124:125]
	v_add_f64_e64 v[181:182], v[126:127], -v[130:131]
	v_add_f64_e64 v[126:127], v[130:131], -v[126:127]
	v_add_f64_e32 v[128:129], v[187:188], v[128:129]
	v_add_f64_e32 v[130:131], v[193:194], v[130:131]
	v_add_f64_e64 v[183:184], v[138:139], -v[134:135]
	v_fma_f64 v[157:158], v[179:180], s[8:9], v[157:158]
	v_add_f64_e64 v[185:186], v[134:135], -v[138:139]
	v_add_f64_e32 v[108:109], v[108:109], v[112:113]
	v_fma_f64 v[110:111], v[189:190], s[10:11], v[122:123]
	v_fma_f64 v[120:121], v[189:190], s[0:1], v[122:123]
	;; [unrolled: 1-line block ×15, first 2 shown]
	v_add_f64_e32 v[153:154], v[153:154], v[175:176]
	v_add_f64_e32 v[124:125], v[124:125], v[177:178]
	;; [unrolled: 1-line block ×8, first 2 shown]
	v_fma_f64 v[110:111], v[191:192], s[14:15], v[110:111]
	v_fma_f64 v[112:113], v[191:192], s[8:9], v[120:121]
	;; [unrolled: 1-line block ×11, first 2 shown]
	v_mul_f64_e32 v[145:146], s[14:15], v[155:156]
	v_mul_f64_e32 v[163:164], s[14:15], v[149:150]
	;; [unrolled: 1-line block ×6, first 2 shown]
	s_wait_alu 0xfffe
	v_mul_f64_e32 v[147:148], s[18:19], v[147:148]
	v_mul_f64_e32 v[149:150], s[20:21], v[149:150]
	v_add_f64_e32 v[128:129], v[128:129], v[136:137]
	v_add_f64_e32 v[130:131], v[130:131], v[138:139]
	v_fma_f64 v[136:137], v[153:154], s[12:13], v[110:111]
	v_fma_f64 v[138:139], v[153:154], s[12:13], v[112:113]
	;; [unrolled: 1-line block ×16, first 2 shown]
	v_add_f64_e32 v[104:105], v[128:129], v[108:109]
	v_add_f64_e32 v[106:107], v[130:131], v[116:117]
	v_add_f64_e64 v[110:111], v[130:131], -v[116:117]
	v_add_f64_e64 v[108:109], v[128:129], -v[108:109]
	v_add_f64_e32 v[112:113], v[136:137], v[132:133]
	v_add_f64_e32 v[124:125], v[138:139], v[151:152]
	;; [unrolled: 1-line block ×8, first 2 shown]
	v_add_f64_e64 v[128:129], v[136:137], -v[132:133]
	v_add_f64_e64 v[130:131], v[173:174], -v[155:156]
	;; [unrolled: 1-line block ×8, first 2 shown]
	ds_store_b128 v216, v[104:107]
	ds_store_b128 v216, v[112:115] offset:16
	ds_store_b128 v216, v[116:119] offset:32
	;; [unrolled: 1-line block ×9, first 2 shown]
	global_wb scope:SCOPE_SE
	s_wait_dscnt 0x0
	s_barrier_signal -1
	s_barrier_wait -1
	global_inv scope:SCOPE_SE
	ds_load_b128 v[104:107], v212 offset:1760
	ds_load_b128 v[108:111], v212 offset:2112
	;; [unrolled: 1-line block ×6, first 2 shown]
	s_wait_dscnt 0x5
	v_mul_f64_e32 v[128:129], v[74:75], v[106:107]
	v_mul_f64_e32 v[74:75], v[74:75], v[104:105]
	s_wait_dscnt 0x4
	v_mul_f64_e32 v[130:131], v[78:79], v[110:111]
	v_mul_f64_e32 v[78:79], v[78:79], v[108:109]
	;; [unrolled: 3-line block ×5, first 2 shown]
	v_fma_f64 v[104:105], v[72:73], v[104:105], v[128:129]
	v_fma_f64 v[72:73], v[72:73], v[106:107], -v[74:75]
	v_fma_f64 v[74:75], v[76:77], v[108:109], v[130:131]
	v_fma_f64 v[76:77], v[76:77], v[110:111], -v[78:79]
	v_fma_f64 v[78:79], v[80:81], v[112:113], v[132:133]
	v_fma_f64 v[108:109], v[80:81], v[114:115], -v[82:83]
	v_fma_f64 v[110:111], v[68:69], v[116:117], v[134:135]
	v_fma_f64 v[128:129], v[68:69], v[118:119], -v[70:71]
	v_fma_f64 v[130:131], v[60:61], v[120:121], v[136:137]
	v_fma_f64 v[132:133], v[60:61], v[122:123], -v[62:63]
	ds_load_b128 v[60:63], v212
	ds_load_b128 v[80:83], v212 offset:352
	ds_load_b128 v[116:119], v212 offset:704
	;; [unrolled: 1-line block ×3, first 2 shown]
	global_wb scope:SCOPE_SE
	s_wait_dscnt 0x0
	s_barrier_signal -1
	s_barrier_wait -1
	global_inv scope:SCOPE_SE
	v_add_f64_e64 v[104:105], v[60:61], -v[104:105]
	v_add_f64_e64 v[106:107], v[62:63], -v[72:73]
	;; [unrolled: 1-line block ×10, first 2 shown]
	v_fma_f64 v[60:61], v[60:61], 2.0, -v[104:105]
	v_fma_f64 v[62:63], v[62:63], 2.0, -v[106:107]
	;; [unrolled: 1-line block ×10, first 2 shown]
	ds_store_b128 v219, v[60:63]
	ds_store_b128 v219, v[104:107] offset:160
	ds_store_b128 v218, v[108:111]
	ds_store_b128 v218, v[68:71] offset:160
	ds_store_b128 v217, v[116:119]
	ds_store_b128 v217, v[112:115] offset:160
	ds_store_b128 v255, v[120:123]
	ds_store_b128 v255, v[72:75] offset:160
	ds_store_b128 v211, v[80:83]
	ds_store_b128 v211, v[76:79] offset:160
	global_wb scope:SCOPE_SE
	s_wait_dscnt 0x0
	s_barrier_signal -1
	s_barrier_wait -1
	global_inv scope:SCOPE_SE
	s_and_saveexec_b32 s0, vcc_lo
	s_cbranch_execz .LBB0_7
; %bb.6:
	ds_load_b128 v[60:63], v212
	ds_load_b128 v[104:107], v212 offset:320
	ds_load_b128 v[108:111], v212 offset:640
	;; [unrolled: 1-line block ×10, first 2 shown]
.LBB0_7:
	s_wait_alu 0xfffe
	s_or_b32 exec_lo, exec_lo, s0
	s_and_saveexec_b32 s16, vcc_lo
	s_cbranch_execz .LBB0_9
; %bb.8:
	s_wait_dscnt 0x9
	v_mul_f64_e32 v[124:125], v[66:67], v[104:105]
	v_mul_f64_e32 v[66:67], v[66:67], v[106:107]
	s_wait_dscnt 0x2
	v_mul_f64_e32 v[136:137], v[54:55], v[82:83]
	v_mul_f64_e32 v[138:139], v[90:91], v[110:111]
	;; [unrolled: 3-line block ×4, first 2 shown]
	v_mul_f64_e32 v[128:129], v[98:99], v[122:123]
	v_mul_f64_e32 v[102:103], v[102:103], v[112:113]
	;; [unrolled: 1-line block ×9, first 2 shown]
	s_mov_b32 s18, 0x43842ef
	s_mov_b32 s22, 0xbb3a28a1
	;; [unrolled: 1-line block ×9, first 2 shown]
	s_wait_alu 0xfffe
	s_mov_b32 s28, s24
	s_mov_b32 s14, 0x640f44db
	s_mov_b32 s12, 0x7f775887
	s_mov_b32 s10, 0x8764f0ba
	s_mov_b32 s8, 0x9bcd5057
	s_mov_b32 s15, 0xbfc2375f
	s_mov_b32 s13, 0xbfe4f49e
	s_mov_b32 s11, 0x3feaeb8c
	s_mov_b32 s9, 0xbfeeb42a
	s_mov_b32 s31, 0x3fefac9e
	s_mov_b32 s35, 0x3fd207e7
	s_mov_b32 s30, s18
	v_fma_f64 v[106:107], v[64:65], v[106:107], -v[124:125]
	v_fma_f64 v[64:65], v[64:65], v[104:105], v[66:67]
	v_mul_f64_e32 v[66:67], v[50:51], v[68:69]
	v_mul_f64_e32 v[104:105], v[54:55], v[80:81]
	;; [unrolled: 1-line block ×3, first 2 shown]
	v_fma_f64 v[50:51], v[52:53], v[80:81], v[136:137]
	v_fma_f64 v[80:81], v[88:89], v[108:109], v[138:139]
	;; [unrolled: 1-line block ×3, first 2 shown]
	v_fma_f64 v[76:77], v[88:89], v[110:111], -v[90:91]
	v_fma_f64 v[42:43], v[40:41], v[84:85], v[142:143]
	v_fma_f64 v[112:113], v[100:101], v[112:113], v[126:127]
	;; [unrolled: 1-line block ×3, first 2 shown]
	v_fma_f64 v[100:101], v[100:101], v[114:115], -v[102:103]
	v_fma_f64 v[96:97], v[96:97], v[122:123], -v[98:99]
	v_fma_f64 v[98:99], v[92:93], v[116:117], v[130:131]
	v_fma_f64 v[54:55], v[56:57], v[72:73], v[132:133]
	v_fma_f64 v[72:73], v[92:93], v[118:119], -v[94:95]
	v_fma_f64 v[68:69], v[48:49], v[68:69], v[134:135]
	v_fma_f64 v[56:57], v[56:57], v[74:75], -v[58:59]
	v_fma_f64 v[40:41], v[40:41], v[86:87], -v[145:146]
	s_mov_b32 s34, s26
	s_mov_b32 s0, 0xd9c712b6
	;; [unrolled: 1-line block ×3, first 2 shown]
	v_add_f64_e32 v[84:85], v[62:63], v[106:107]
	v_add_f64_e32 v[88:89], v[60:61], v[64:65]
	v_fma_f64 v[48:49], v[48:49], v[70:71], -v[66:67]
	v_fma_f64 v[52:53], v[52:53], v[82:83], -v[104:105]
	;; [unrolled: 1-line block ×3, first 2 shown]
	v_add_f64_e64 v[74:75], v[80:81], -v[46:47]
	v_add_f64_e64 v[78:79], v[64:65], -v[42:43]
	v_add_f64_e32 v[64:65], v[64:65], v[42:43]
	v_add_f64_e64 v[58:59], v[112:113], -v[120:121]
	v_add_f64_e32 v[110:111], v[112:113], v[120:121]
	;; [unrolled: 2-line block ×6, first 2 shown]
	v_add_f64_e32 v[104:105], v[72:73], v[56:57]
	v_add_f64_e32 v[82:83], v[84:85], v[76:77]
	;; [unrolled: 1-line block ×3, first 2 shown]
	v_add_f64_e64 v[88:89], v[72:73], -v[56:57]
	v_add_f64_e64 v[90:91], v[48:49], -v[52:53]
	v_add_f64_e32 v[108:109], v[48:49], v[52:53]
	v_add_f64_e64 v[92:93], v[76:77], -v[44:45]
	v_add_f64_e32 v[76:77], v[76:77], v[44:45]
	v_add_f64_e32 v[80:81], v[80:81], v[46:47]
	v_mul_f64_e32 v[126:127], s[24:25], v[74:75]
	v_mul_f64_e32 v[128:129], s[26:27], v[78:79]
	;; [unrolled: 1-line block ×6, first 2 shown]
	s_wait_alu 0xfffe
	v_mul_f64_e32 v[193:194], s[28:29], v[78:79]
	v_mul_f64_e32 v[122:123], s[20:21], v[66:67]
	;; [unrolled: 1-line block ×24, first 2 shown]
	v_add_f64_e32 v[48:49], v[82:83], v[48:49]
	v_add_f64_e32 v[68:69], v[84:85], v[68:69]
	v_mul_f64_e32 v[84:85], s[20:21], v[88:89]
	v_mul_f64_e32 v[171:172], s[20:21], v[90:91]
	s_mov_b32 s21, 0xbfed1bb4
	v_mul_f64_e32 v[132:133], s[24:25], v[92:93]
	v_mul_f64_e32 v[153:154], s[30:31], v[92:93]
	;; [unrolled: 1-line block ×4, first 2 shown]
	s_wait_alu 0xfffe
	v_mul_f64_e32 v[74:75], s[20:21], v[74:75]
	v_mul_f64_e32 v[92:93], s[20:21], v[92:93]
	v_fma_f64 v[201:202], v[106:107], s[8:9], v[128:129]
	v_fma_f64 v[216:217], v[106:107], s[12:13], v[145:146]
	v_fma_f64 v[220:221], v[106:107], s[14:15], -v[165:166]
	v_fma_f64 v[222:223], v[106:107], s[10:11], -v[193:194]
	;; [unrolled: 1-line block ×4, first 2 shown]
	v_fma_f64 v[165:166], v[106:107], s[14:15], v[165:166]
	v_fma_f64 v[193:194], v[106:107], s[10:11], v[193:194]
	v_fma_f64 v[214:215], v[64:65], s[8:9], -v[134:135]
	v_fma_f64 v[218:219], v[64:65], s[12:13], -v[155:156]
	v_fma_f64 v[224:225], v[64:65], s[10:11], v[195:196]
	v_fma_f64 v[134:135], v[64:65], s[8:9], v[134:135]
	;; [unrolled: 1-line block ×4, first 2 shown]
	v_fma_f64 v[175:176], v[64:65], s[14:15], -v[175:176]
	v_mul_f64_e32 v[130:131], s[22:23], v[90:91]
	v_mul_f64_e32 v[151:152], s[28:29], v[90:91]
	;; [unrolled: 1-line block ×4, first 2 shown]
	v_fma_f64 v[199:200], v[76:77], s[10:11], v[126:127]
	v_fma_f64 v[126:127], v[76:77], s[10:11], -v[126:127]
	v_fma_f64 v[228:229], v[76:77], s[8:9], v[163:164]
	v_fma_f64 v[163:164], v[76:77], s[8:9], -v[163:164]
	;; [unrolled: 2-line block ×3, first 2 shown]
	v_mul_f64_e32 v[149:150], s[26:27], v[88:89]
	v_mul_f64_e32 v[169:170], s[28:29], v[88:89]
	v_add_f64_e32 v[48:49], v[48:49], v[72:73]
	v_add_f64_e32 v[68:69], v[68:69], v[98:99]
	v_mul_f64_e32 v[72:73], s[20:21], v[78:79]
	v_mul_f64_e32 v[78:79], s[20:21], v[94:95]
	;; [unrolled: 1-line block ×3, first 2 shown]
	v_fma_f64 v[209:210], v[80:81], s[10:11], -v[132:133]
	v_fma_f64 v[132:133], v[80:81], s[10:11], v[132:133]
	v_fma_f64 v[230:231], v[80:81], s[8:9], -v[173:174]
	v_fma_f64 v[173:174], v[80:81], s[8:9], v[173:174]
	;; [unrolled: 2-line block ×3, first 2 shown]
	v_fma_f64 v[236:237], v[76:77], s[0:1], v[74:75]
	v_fma_f64 v[238:239], v[80:81], s[0:1], -v[92:93]
	v_fma_f64 v[74:75], v[76:77], s[0:1], -v[74:75]
	v_mul_f64_e32 v[88:89], s[22:23], v[88:89]
	v_add_f64_e32 v[128:129], v[62:63], v[128:129]
	v_add_f64_e32 v[145:146], v[62:63], v[145:146]
	v_fma_f64 v[240:241], v[108:109], s[14:15], v[70:71]
	v_fma_f64 v[70:71], v[108:109], s[14:15], -v[70:71]
	v_fma_f64 v[197:198], v[108:109], s[12:13], v[124:125]
	v_fma_f64 v[124:125], v[108:109], s[12:13], -v[124:125]
	v_mul_f64_e32 v[82:83], s[18:19], v[86:87]
	v_add_f64_e32 v[134:135], v[60:61], v[134:135]
	v_mul_f64_e32 v[86:87], s[26:27], v[86:87]
	v_fma_f64 v[98:99], v[104:105], s[0:1], v[122:123]
	v_fma_f64 v[205:206], v[114:115], s[0:1], -v[84:85]
	v_fma_f64 v[207:208], v[116:117], s[12:13], -v[130:131]
	v_fma_f64 v[130:131], v[116:117], s[12:13], v[130:131]
	v_fma_f64 v[122:123], v[104:105], s[0:1], -v[122:123]
	v_fma_f64 v[242:243], v[116:117], s[14:15], -v[90:91]
	v_fma_f64 v[90:91], v[116:117], s[14:15], v[90:91]
	v_fma_f64 v[84:85], v[114:115], s[0:1], v[84:85]
	;; [unrolled: 1-line block ×3, first 2 shown]
	v_fma_f64 v[118:119], v[102:103], s[14:15], -v[118:119]
	v_add_f64_e32 v[48:49], v[48:49], v[100:101]
	v_add_f64_e32 v[68:69], v[68:69], v[112:113]
	v_fma_f64 v[100:101], v[106:107], s[0:1], -v[72:73]
	v_fma_f64 v[112:113], v[64:65], s[0:1], v[78:79]
	v_fma_f64 v[72:73], v[106:107], s[0:1], v[72:73]
	v_fma_f64 v[78:79], v[64:65], s[0:1], -v[78:79]
	v_fma_f64 v[64:65], v[64:65], s[10:11], -v[195:196]
	v_fma_f64 v[106:107], v[76:77], s[14:15], v[142:143]
	v_fma_f64 v[195:196], v[80:81], s[14:15], -v[153:154]
	v_fma_f64 v[142:143], v[76:77], s[14:15], -v[142:143]
	v_fma_f64 v[153:154], v[80:81], s[14:15], v[153:154]
	v_fma_f64 v[76:77], v[80:81], s[0:1], v[92:93]
	v_add_f64_e32 v[80:81], v[62:63], v[201:202]
	v_add_f64_e32 v[92:93], v[60:61], v[214:215]
	;; [unrolled: 1-line block ×7, first 2 shown]
	v_fma_f64 v[222:223], v[116:117], s[0:1], -v[171:172]
	v_fma_f64 v[171:172], v[116:117], s[0:1], v[171:172]
	v_fma_f64 v[224:225], v[108:109], s[8:9], v[181:182]
	v_fma_f64 v[181:182], v[108:109], s[8:9], -v[181:182]
	v_fma_f64 v[203:204], v[110:111], s[14:15], -v[82:83]
	v_fma_f64 v[82:83], v[110:111], s[14:15], v[82:83]
	v_add_f64_e32 v[48:49], v[48:49], v[96:97]
	v_add_f64_e32 v[68:69], v[68:69], v[120:121]
	;; [unrolled: 1-line block ×12, first 2 shown]
	v_fma_f64 v[64:65], v[108:109], s[10:11], v[140:141]
	v_fma_f64 v[78:79], v[116:117], s[10:11], -v[151:152]
	v_add_f64_e32 v[106:107], v[106:107], v[201:202]
	v_fma_f64 v[140:141], v[108:109], s[10:11], -v[140:141]
	v_fma_f64 v[151:152], v[116:117], s[10:11], v[151:152]
	v_add_f64_e32 v[74:75], v[74:75], v[218:219]
	v_add_f64_e32 v[76:77], v[76:77], v[220:221]
	v_fma_f64 v[193:194], v[108:109], s[0:1], v[161:162]
	v_fma_f64 v[161:162], v[108:109], s[0:1], -v[161:162]
	v_fma_f64 v[226:227], v[116:117], s[8:9], -v[189:190]
	v_fma_f64 v[189:190], v[116:117], s[8:9], v[189:190]
	v_add_f64_e32 v[80:81], v[199:200], v[80:81]
	v_add_f64_e32 v[108:109], v[126:127], v[128:129]
	;; [unrolled: 1-line block ×7, first 2 shown]
	v_fma_f64 v[142:143], v[104:105], s[8:9], v[138:139]
	v_fma_f64 v[138:139], v[104:105], s[8:9], -v[138:139]
	v_fma_f64 v[145:146], v[114:115], s[8:9], -v[149:150]
	v_fma_f64 v[149:150], v[114:115], s[8:9], v[149:150]
	v_fma_f64 v[163:164], v[114:115], s[10:11], v[169:170]
	v_add_f64_e32 v[48:49], v[48:49], v[56:57]
	v_add_f64_e32 v[54:55], v[68:69], v[54:55]
	;; [unrolled: 1-line block ×12, first 2 shown]
	v_fma_f64 v[165:166], v[104:105], s[14:15], v[179:180]
	v_fma_f64 v[173:174], v[104:105], s[14:15], -v[179:180]
	v_fma_f64 v[179:180], v[104:105], s[12:13], v[66:67]
	v_fma_f64 v[183:184], v[114:115], s[12:13], -v[88:89]
	v_fma_f64 v[66:67], v[104:105], s[12:13], -v[66:67]
	v_fma_f64 v[88:89], v[114:115], s[12:13], v[88:89]
	v_add_f64_e32 v[64:65], v[64:65], v[106:107]
	v_add_f64_e32 v[70:71], v[70:71], v[74:75]
	;; [unrolled: 1-line block ×3, first 2 shown]
	v_fma_f64 v[153:154], v[104:105], s[10:11], v[159:160]
	v_fma_f64 v[159:160], v[104:105], s[10:11], -v[159:160]
	v_fma_f64 v[175:176], v[114:115], s[14:15], v[187:188]
	v_add_f64_e32 v[80:81], v[197:198], v[80:81]
	v_add_f64_e32 v[104:105], v[124:125], v[108:109]
	;; [unrolled: 1-line block ×4, first 2 shown]
	v_fma_f64 v[155:156], v[114:115], s[10:11], -v[169:170]
	v_fma_f64 v[169:170], v[114:115], s[14:15], -v[187:188]
	v_add_f64_e32 v[92:93], v[207:208], v[92:93]
	v_add_f64_e32 v[114:115], v[161:162], v[132:133]
	v_add_f64_e32 v[78:79], v[78:79], v[126:127]
	v_fma_f64 v[116:117], v[102:103], s[0:1], -v[136:137]
	v_fma_f64 v[124:125], v[102:103], s[12:13], v[157:158]
	v_fma_f64 v[128:129], v[102:103], s[12:13], -v[157:158]
	v_fma_f64 v[132:133], v[102:103], s[10:11], v[177:178]
	v_fma_f64 v[140:141], v[110:111], s[10:11], v[185:186]
	v_add_f64_e32 v[48:49], v[48:49], v[52:53]
	v_add_f64_e32 v[50:51], v[54:55], v[50:51]
	;; [unrolled: 1-line block ×12, first 2 shown]
	v_fma_f64 v[100:101], v[102:103], s[0:1], v[136:137]
	v_fma_f64 v[151:152], v[110:111], s[8:9], -v[86:87]
	v_fma_f64 v[86:87], v[110:111], s[8:9], v[86:87]
	v_fma_f64 v[112:113], v[110:111], s[0:1], -v[147:148]
	;; [unrolled: 2-line block ×3, first 2 shown]
	v_add_f64_e32 v[64:65], v[142:143], v[64:65]
	v_add_f64_e32 v[66:67], v[66:67], v[70:71]
	;; [unrolled: 1-line block ×3, first 2 shown]
	v_fma_f64 v[147:148], v[102:103], s[8:9], v[58:59]
	v_fma_f64 v[102:103], v[102:103], s[8:9], -v[58:59]
	v_fma_f64 v[130:131], v[110:111], s[12:13], v[167:168]
	v_add_f64_e32 v[58:59], v[98:99], v[80:81]
	v_fma_f64 v[126:127], v[110:111], s[12:13], -v[167:168]
	v_add_f64_e32 v[84:85], v[84:85], v[108:109]
	v_add_f64_e32 v[98:99], v[138:139], v[106:107]
	v_fma_f64 v[134:135], v[110:111], s[10:11], -v[185:186]
	v_add_f64_e32 v[80:81], v[205:206], v[92:93]
	v_add_f64_e32 v[92:93], v[122:123], v[104:105]
	v_add_f64_e32 v[104:105], v[159:160], v[114:115]
	v_add_f64_e32 v[78:79], v[145:146], v[78:79]
	v_add_f64_e32 v[74:75], v[48:49], v[44:45]
	v_add_f64_e32 v[88:89], v[50:51], v[46:47]
	v_add_f64_e32 v[106:107], v[173:174], v[52:53]
	v_add_f64_e32 v[108:109], v[175:176], v[54:55]
	v_add_f64_e32 v[56:57], v[163:164], v[56:57]
	v_add_f64_e32 v[110:111], v[149:150], v[68:69]
	v_add_f64_e32 v[76:77], v[153:154], v[76:77]
	v_add_f64_e32 v[90:91], v[155:156], v[90:91]
	v_add_f64_e32 v[96:97], v[179:180], v[96:97]
	v_add_f64_e32 v[114:115], v[165:166], v[62:63]
	v_add_f64_e32 v[122:123], v[169:170], v[72:73]
	v_add_f64_e32 v[138:139], v[183:184], v[60:61]
	v_add_f64_e32 v[54:55], v[100:101], v[64:65]
	v_add_f64_e32 v[64:65], v[86:87], v[70:71]
	v_add_f64_e32 v[66:67], v[102:103], v[66:67]
	v_add_f64_e32 v[46:47], v[94:95], v[58:59]
	v_add_f64_e32 v[48:49], v[82:83], v[84:85]
	v_add_f64_e32 v[58:59], v[116:117], v[98:99]
	v_lshl_add_u32 v84, v244, 4, v213
	v_add_f64_e32 v[44:45], v[203:204], v[80:81]
	v_add_f64_e32 v[50:51], v[118:119], v[92:93]
	;; [unrolled: 1-line block ×16, first 2 shown]
	ds_store_b128 v212, v[68:71]
	ds_store_b128 v84, v[64:67] offset:320
	ds_store_b128 v84, v[40:43] offset:640
	;; [unrolled: 1-line block ×10, first 2 shown]
.LBB0_9:
	s_wait_alu 0xfffe
	s_or_b32 exec_lo, exec_lo, s16
	global_wb scope:SCOPE_SE
	s_wait_dscnt 0x0
	s_barrier_signal -1
	s_barrier_wait -1
	global_inv scope:SCOPE_SE
	ds_load_b128 v[40:43], v212
	ds_load_b128 v[44:47], v212 offset:352
	ds_load_b128 v[48:51], v212 offset:704
	;; [unrolled: 1-line block ×9, first 2 shown]
	scratch_load_b128 v[8:11], off, off th:TH_LOAD_LU ; 16-byte Folded Reload
	v_mad_co_u64_u32 v[80:81], null, s6, v144, 0
	v_mad_co_u64_u32 v[82:83], null, s4, v244, 0
	s_mul_u64 s[0:1], s[4:5], 0x160
	s_delay_alu instid0(VALU_DEP_1)
	v_mad_co_u64_u32 v[92:93], null, s7, v144, v[81:82]
	s_wait_dscnt 0x9
	v_mul_f64_e32 v[84:85], v[247:248], v[42:43]
	v_mul_f64_e32 v[2:3], v[247:248], v[40:41]
	s_wait_dscnt 0x8
	v_mul_f64_e32 v[86:87], v[251:252], v[46:47]
	v_mul_f64_e32 v[6:7], v[251:252], v[44:45]
	;; [unrolled: 3-line block ×4, first 2 shown]
	v_mul_f64_e32 v[93:94], v[18:19], v[58:59]
	v_mul_f64_e32 v[18:19], v[18:19], v[56:57]
	s_wait_dscnt 0x3
	v_mul_f64_e32 v[97:98], v[26:27], v[66:67]
	v_mul_f64_e32 v[26:27], v[26:27], v[64:65]
	s_wait_dscnt 0x2
	;; [unrolled: 3-line block ×4, first 2 shown]
	v_mul_f64_e32 v[103:104], v[38:39], v[78:79]
	v_mul_f64_e32 v[38:39], v[38:39], v[76:77]
	v_mov_b32_e32 v81, v92
	s_delay_alu instid0(VALU_DEP_1) | instskip(NEXT) | instid1(VALU_DEP_1)
	v_lshlrev_b64_e32 v[80:81], 4, v[80:81]
	v_add_co_u32 v0, vcc_lo, s2, v80
	s_wait_alu 0xfffd
	s_delay_alu instid0(VALU_DEP_2)
	v_add_co_ci_u32_e32 v1, vcc_lo, s3, v81, vcc_lo
	s_mov_b32 s2, 0x29e4129e
	s_mov_b32 s3, 0x3f729e41
	v_fma_f64 v[40:41], v[245:246], v[40:41], v[84:85]
	v_fma_f64 v[2:3], v[245:246], v[42:43], -v[2:3]
	v_fma_f64 v[42:43], v[249:250], v[44:45], v[86:87]
	v_fma_f64 v[6:7], v[249:250], v[46:47], -v[6:7]
	;; [unrolled: 2-line block ×3, first 2 shown]
	v_mad_co_u64_u32 v[105:106], null, s5, v244, v[83:84]
	v_fma_f64 v[22:23], v[20:21], v[62:63], -v[22:23]
	v_fma_f64 v[18:19], v[16:17], v[58:59], -v[18:19]
	v_fma_f64 v[52:53], v[24:25], v[64:65], v[97:98]
	v_fma_f64 v[26:27], v[24:25], v[66:67], -v[26:27]
	v_fma_f64 v[54:55], v[28:29], v[68:69], v[99:100]
	v_fma_f64 v[30:31], v[28:29], v[70:71], -v[30:31]
	v_mov_b32_e32 v83, v105
	v_fma_f64 v[34:35], v[32:33], v[74:75], -v[34:35]
	v_fma_f64 v[58:59], v[36:37], v[76:77], v[103:104]
	v_fma_f64 v[38:39], v[36:37], v[78:79], -v[38:39]
	s_delay_alu instid0(VALU_DEP_4)
	v_lshlrev_b64_e32 v[82:83], 4, v[82:83]
	s_wait_alu 0xfffe
	v_mul_f64_e32 v[2:3], s[2:3], v[2:3]
	v_mul_f64_e32 v[4:5], s[2:3], v[42:43]
	;; [unrolled: 1-line block ×14, first 2 shown]
	s_wait_loadcnt 0x0
	v_mul_f64_e32 v[88:89], v[10:11], v[50:51]
	v_mul_f64_e32 v[10:11], v[10:11], v[48:49]
	s_delay_alu instid0(VALU_DEP_2) | instskip(NEXT) | instid1(VALU_DEP_2)
	v_fma_f64 v[44:45], v[8:9], v[48:49], v[88:89]
	v_fma_f64 v[10:11], v[8:9], v[50:51], -v[10:11]
	v_fma_f64 v[50:51], v[20:21], v[60:61], v[95:96]
	v_fma_f64 v[48:49], v[16:17], v[56:57], v[93:94]
	v_fma_f64 v[56:57], v[32:33], v[72:73], v[101:102]
	v_add_co_u32 v60, vcc_lo, v0, v82
	s_wait_alu 0xfffd
	v_add_co_ci_u32_e32 v61, vcc_lo, v1, v83, vcc_lo
	v_mul_f64_e32 v[0:1], s[2:3], v[40:41]
	s_delay_alu instid0(VALU_DEP_3) | instskip(SKIP_1) | instid1(VALU_DEP_3)
	v_add_co_u32 v62, vcc_lo, v60, s0
	s_wait_alu 0xfffd
	v_add_co_ci_u32_e32 v63, vcc_lo, s1, v61, vcc_lo
	s_delay_alu instid0(VALU_DEP_2) | instskip(SKIP_1) | instid1(VALU_DEP_2)
	v_add_co_u32 v64, vcc_lo, v62, s0
	s_wait_alu 0xfffd
	v_add_co_ci_u32_e32 v65, vcc_lo, s1, v63, vcc_lo
	s_delay_alu instid0(VALU_DEP_2) | instskip(SKIP_1) | instid1(VALU_DEP_2)
	;; [unrolled: 4-line block ×3, first 2 shown]
	v_add_co_u32 v42, vcc_lo, v40, s0
	s_wait_alu 0xfffd
	v_add_co_ci_u32_e32 v43, vcc_lo, s1, v41, vcc_lo
	v_mul_f64_e32 v[8:9], s[2:3], v[44:45]
	v_mul_f64_e32 v[10:11], s[2:3], v[10:11]
	;; [unrolled: 1-line block ×5, first 2 shown]
	v_add_co_u32 v44, vcc_lo, v42, s0
	s_wait_alu 0xfffd
	v_add_co_ci_u32_e32 v45, vcc_lo, s1, v43, vcc_lo
	s_clause 0x4
	global_store_b128 v[60:61], v[0:3], off
	global_store_b128 v[62:63], v[4:7], off
	;; [unrolled: 1-line block ×5, first 2 shown]
	v_add_co_u32 v46, vcc_lo, v44, s0
	s_wait_alu 0xfffd
	v_add_co_ci_u32_e32 v47, vcc_lo, s1, v45, vcc_lo
	s_delay_alu instid0(VALU_DEP_2) | instskip(SKIP_1) | instid1(VALU_DEP_2)
	v_add_co_u32 v48, vcc_lo, v46, s0
	s_wait_alu 0xfffd
	v_add_co_ci_u32_e32 v49, vcc_lo, s1, v47, vcc_lo
	s_delay_alu instid0(VALU_DEP_2) | instskip(SKIP_1) | instid1(VALU_DEP_2)
	;; [unrolled: 4-line block ×3, first 2 shown]
	v_add_co_u32 v0, vcc_lo, v50, s0
	s_wait_alu 0xfffd
	v_add_co_ci_u32_e32 v1, vcc_lo, s1, v51, vcc_lo
	global_store_b128 v[44:45], v[20:23], off
	global_store_b128 v[46:47], v[24:27], off
	;; [unrolled: 1-line block ×5, first 2 shown]
.LBB0_10:
	s_nop 0
	s_sendmsg sendmsg(MSG_DEALLOC_VGPRS)
	s_endpgm
	.section	.rodata,"a",@progbits
	.p2align	6, 0x0
	.amdhsa_kernel bluestein_single_back_len220_dim1_dp_op_CI_CI
		.amdhsa_group_segment_fixed_size 17600
		.amdhsa_private_segment_fixed_size 52
		.amdhsa_kernarg_size 104
		.amdhsa_user_sgpr_count 2
		.amdhsa_user_sgpr_dispatch_ptr 0
		.amdhsa_user_sgpr_queue_ptr 0
		.amdhsa_user_sgpr_kernarg_segment_ptr 1
		.amdhsa_user_sgpr_dispatch_id 0
		.amdhsa_user_sgpr_private_segment_size 0
		.amdhsa_wavefront_size32 1
		.amdhsa_uses_dynamic_stack 0
		.amdhsa_enable_private_segment 1
		.amdhsa_system_sgpr_workgroup_id_x 1
		.amdhsa_system_sgpr_workgroup_id_y 0
		.amdhsa_system_sgpr_workgroup_id_z 0
		.amdhsa_system_sgpr_workgroup_info 0
		.amdhsa_system_vgpr_workitem_id 0
		.amdhsa_next_free_vgpr 256
		.amdhsa_next_free_sgpr 40
		.amdhsa_reserve_vcc 1
		.amdhsa_float_round_mode_32 0
		.amdhsa_float_round_mode_16_64 0
		.amdhsa_float_denorm_mode_32 3
		.amdhsa_float_denorm_mode_16_64 3
		.amdhsa_fp16_overflow 0
		.amdhsa_workgroup_processor_mode 1
		.amdhsa_memory_ordered 1
		.amdhsa_forward_progress 0
		.amdhsa_round_robin_scheduling 0
		.amdhsa_exception_fp_ieee_invalid_op 0
		.amdhsa_exception_fp_denorm_src 0
		.amdhsa_exception_fp_ieee_div_zero 0
		.amdhsa_exception_fp_ieee_overflow 0
		.amdhsa_exception_fp_ieee_underflow 0
		.amdhsa_exception_fp_ieee_inexact 0
		.amdhsa_exception_int_div_zero 0
	.end_amdhsa_kernel
	.text
.Lfunc_end0:
	.size	bluestein_single_back_len220_dim1_dp_op_CI_CI, .Lfunc_end0-bluestein_single_back_len220_dim1_dp_op_CI_CI
                                        ; -- End function
	.section	.AMDGPU.csdata,"",@progbits
; Kernel info:
; codeLenInByte = 12176
; NumSgprs: 42
; NumVgprs: 256
; ScratchSize: 52
; MemoryBound: 0
; FloatMode: 240
; IeeeMode: 1
; LDSByteSize: 17600 bytes/workgroup (compile time only)
; SGPRBlocks: 5
; VGPRBlocks: 31
; NumSGPRsForWavesPerEU: 42
; NumVGPRsForWavesPerEU: 256
; Occupancy: 5
; WaveLimiterHint : 1
; COMPUTE_PGM_RSRC2:SCRATCH_EN: 1
; COMPUTE_PGM_RSRC2:USER_SGPR: 2
; COMPUTE_PGM_RSRC2:TRAP_HANDLER: 0
; COMPUTE_PGM_RSRC2:TGID_X_EN: 1
; COMPUTE_PGM_RSRC2:TGID_Y_EN: 0
; COMPUTE_PGM_RSRC2:TGID_Z_EN: 0
; COMPUTE_PGM_RSRC2:TIDIG_COMP_CNT: 0
	.text
	.p2alignl 7, 3214868480
	.fill 96, 4, 3214868480
	.type	__hip_cuid_4aa40c1fd92309d,@object ; @__hip_cuid_4aa40c1fd92309d
	.section	.bss,"aw",@nobits
	.globl	__hip_cuid_4aa40c1fd92309d
__hip_cuid_4aa40c1fd92309d:
	.byte	0                               ; 0x0
	.size	__hip_cuid_4aa40c1fd92309d, 1

	.ident	"AMD clang version 19.0.0git (https://github.com/RadeonOpenCompute/llvm-project roc-6.4.0 25133 c7fe45cf4b819c5991fe208aaa96edf142730f1d)"
	.section	".note.GNU-stack","",@progbits
	.addrsig
	.addrsig_sym __hip_cuid_4aa40c1fd92309d
	.amdgpu_metadata
---
amdhsa.kernels:
  - .args:
      - .actual_access:  read_only
        .address_space:  global
        .offset:         0
        .size:           8
        .value_kind:     global_buffer
      - .actual_access:  read_only
        .address_space:  global
        .offset:         8
        .size:           8
        .value_kind:     global_buffer
      - .actual_access:  read_only
        .address_space:  global
        .offset:         16
        .size:           8
        .value_kind:     global_buffer
      - .actual_access:  read_only
        .address_space:  global
        .offset:         24
        .size:           8
        .value_kind:     global_buffer
      - .actual_access:  read_only
        .address_space:  global
        .offset:         32
        .size:           8
        .value_kind:     global_buffer
      - .offset:         40
        .size:           8
        .value_kind:     by_value
      - .address_space:  global
        .offset:         48
        .size:           8
        .value_kind:     global_buffer
      - .address_space:  global
        .offset:         56
        .size:           8
        .value_kind:     global_buffer
      - .address_space:  global
        .offset:         64
        .size:           8
        .value_kind:     global_buffer
      - .address_space:  global
        .offset:         72
        .size:           8
        .value_kind:     global_buffer
      - .offset:         80
        .size:           4
        .value_kind:     by_value
      - .address_space:  global
        .offset:         88
        .size:           8
        .value_kind:     global_buffer
      - .address_space:  global
        .offset:         96
        .size:           8
        .value_kind:     global_buffer
    .group_segment_fixed_size: 17600
    .kernarg_segment_align: 8
    .kernarg_segment_size: 104
    .language:       OpenCL C
    .language_version:
      - 2
      - 0
    .max_flat_workgroup_size: 110
    .name:           bluestein_single_back_len220_dim1_dp_op_CI_CI
    .private_segment_fixed_size: 52
    .sgpr_count:     42
    .sgpr_spill_count: 0
    .symbol:         bluestein_single_back_len220_dim1_dp_op_CI_CI.kd
    .uniform_work_group_size: 1
    .uses_dynamic_stack: false
    .vgpr_count:     256
    .vgpr_spill_count: 12
    .wavefront_size: 32
    .workgroup_processor_mode: 1
amdhsa.target:   amdgcn-amd-amdhsa--gfx1201
amdhsa.version:
  - 1
  - 2
...

	.end_amdgpu_metadata
